;; amdgpu-corpus repo=ROCm/rocFFT kind=compiled arch=gfx906 opt=O3
	.text
	.amdgcn_target "amdgcn-amd-amdhsa--gfx906"
	.amdhsa_code_object_version 6
	.protected	fft_rtc_back_len289_factors_17_17_wgs_119_tpt_17_dp_ip_CI_sbcc_twdbase6_3step_dirReg_intrinsicReadWrite ; -- Begin function fft_rtc_back_len289_factors_17_17_wgs_119_tpt_17_dp_ip_CI_sbcc_twdbase6_3step_dirReg_intrinsicReadWrite
	.globl	fft_rtc_back_len289_factors_17_17_wgs_119_tpt_17_dp_ip_CI_sbcc_twdbase6_3step_dirReg_intrinsicReadWrite
	.p2align	8
	.type	fft_rtc_back_len289_factors_17_17_wgs_119_tpt_17_dp_ip_CI_sbcc_twdbase6_3step_dirReg_intrinsicReadWrite,@function
fft_rtc_back_len289_factors_17_17_wgs_119_tpt_17_dp_ip_CI_sbcc_twdbase6_3step_dirReg_intrinsicReadWrite: ; @fft_rtc_back_len289_factors_17_17_wgs_119_tpt_17_dp_ip_CI_sbcc_twdbase6_3step_dirReg_intrinsicReadWrite
; %bb.0:
	s_load_dwordx2 s[16:17], s[4:5], 0x58
	s_load_dwordx2 s[56:57], s[4:5], 0x0
	s_load_dwordx8 s[8:15], s[4:5], 0x8
	s_movk_i32 s0, 0xc0
	v_cmp_gt_u32_e32 vcc, s0, v0
	s_and_saveexec_b64 s[2:3], vcc
	s_cbranch_execz .LBB0_3
; %bb.1:
	v_add_co_u32_e32 v1, vcc, 0xffffff89, v0
	v_lshlrev_b32_e32 v5, 4, v0
	v_addc_co_u32_e64 v2, s[0:1], 0, -1, vcc
	s_waitcnt lgkmcnt(0)
	v_mov_b32_e32 v4, s9
	v_add_co_u32_e32 v3, vcc, s8, v5
	v_add_u32_e32 v5, 0, v5
	v_addc_co_u32_e32 v4, vcc, 0, v4, vcc
	v_add_u32_e32 v5, 0x7e70, v5
	s_mov_b64 s[4:5], 0x48
	s_mov_b64 s[8:9], 0
.LBB0_2:                                ; =>This Inner Loop Header: Depth=1
	global_load_dwordx4 v[6:9], v[3:4], off
	v_add_co_u32_e32 v1, vcc, 0x77, v1
	v_addc_co_u32_e32 v2, vcc, 0, v2, vcc
	v_cmp_lt_u64_e64 s[0:1], s[4:5], v[1:2]
	v_add_co_u32_e32 v3, vcc, 0x770, v3
	v_addc_co_u32_e32 v4, vcc, 0, v4, vcc
	s_or_b64 s[8:9], s[0:1], s[8:9]
	s_waitcnt vmcnt(0)
	ds_write2_b64 v5, v[6:7], v[8:9] offset1:1
	v_add_u32_e32 v5, 0x770, v5
	s_andn2_b64 exec, exec, s[8:9]
	s_cbranch_execnz .LBB0_2
.LBB0_3:
	s_or_b64 exec, exec, s[2:3]
	s_waitcnt lgkmcnt(0)
	s_load_dwordx2 s[2:3], s[12:13], 0x8
	s_mov_b32 s7, 0
	s_waitcnt lgkmcnt(0)
	s_add_u32 s0, s2, -1
	s_addc_u32 s1, s3, -1
	s_add_u32 s4, 0, 0x92481000
	s_addc_u32 s5, 0, 0x64
	s_mul_hi_u32 s9, s4, -7
	s_add_i32 s5, s5, 0x249248c0
	s_sub_i32 s9, s9, s4
	s_mul_i32 s20, s5, -7
	s_mul_i32 s8, s4, -7
	s_add_i32 s9, s9, s20
	s_mul_hi_u32 s18, s5, s8
	s_mul_i32 s19, s5, s8
	s_mul_i32 s21, s4, s9
	s_mul_hi_u32 s8, s4, s8
	s_mul_hi_u32 s20, s4, s9
	s_add_u32 s8, s8, s21
	s_addc_u32 s20, 0, s20
	s_add_u32 s8, s8, s19
	s_mul_hi_u32 s21, s5, s9
	s_addc_u32 s8, s20, s18
	s_addc_u32 s18, s21, 0
	s_mul_i32 s9, s5, s9
	s_add_u32 s8, s8, s9
	v_mov_b32_e32 v1, s8
	s_addc_u32 s9, 0, s18
	v_add_co_u32_e32 v1, vcc, s4, v1
	s_cmp_lg_u64 vcc, 0
	s_addc_u32 s4, s5, s9
	v_readfirstlane_b32 s9, v1
	s_mul_i32 s8, s0, s4
	s_mul_hi_u32 s18, s0, s9
	s_mul_hi_u32 s5, s0, s4
	s_add_u32 s8, s18, s8
	s_addc_u32 s5, 0, s5
	s_mul_hi_u32 s19, s1, s9
	s_mul_i32 s9, s1, s9
	s_add_u32 s8, s8, s9
	s_mul_hi_u32 s18, s1, s4
	s_addc_u32 s5, s5, s19
	s_addc_u32 s8, s18, 0
	s_mul_i32 s4, s1, s4
	s_add_u32 s4, s5, s4
	s_addc_u32 s5, 0, s8
	s_add_u32 s8, s4, 1
	s_addc_u32 s9, s5, 0
	s_add_u32 s18, s4, 2
	s_mul_i32 s20, s5, 7
	s_mul_hi_u32 s21, s4, 7
	s_addc_u32 s19, s5, 0
	s_add_i32 s21, s21, s20
	s_mul_i32 s20, s4, 7
	v_mov_b32_e32 v1, s20
	v_sub_co_u32_e32 v1, vcc, s0, v1
	s_cmp_lg_u64 vcc, 0
	s_subb_u32 s0, s1, s21
	v_subrev_co_u32_e32 v2, vcc, 7, v1
	s_cmp_lg_u64 vcc, 0
	s_subb_u32 s1, s0, 0
	v_readfirstlane_b32 s20, v2
	s_cmp_gt_u32 s20, 6
	s_cselect_b32 s20, -1, 0
	s_cmp_eq_u32 s1, 0
	s_cselect_b32 s1, s20, -1
	s_cmp_lg_u32 s1, 0
	s_cselect_b32 s1, s18, s8
	s_cselect_b32 s8, s19, s9
	v_readfirstlane_b32 s9, v1
	s_cmp_gt_u32 s9, 6
	s_cselect_b32 s9, -1, 0
	s_cmp_eq_u32 s0, 0
	s_cselect_b32 s0, s9, -1
	s_cmp_lg_u32 s0, 0
	s_cselect_b32 s1, s1, s4
	s_cselect_b32 s0, s8, s5
	s_add_u32 s4, s1, 1
	s_addc_u32 s5, s0, 0
	v_mov_b32_e32 v1, s4
	v_mov_b32_e32 v2, s5
	v_cmp_lt_u64_e32 vcc, s[6:7], v[1:2]
	s_mov_b64 s[8:9], 0
	s_cbranch_vccnz .LBB0_5
; %bb.4:
	v_cvt_f32_u32_e32 v1, s4
	s_sub_i32 s0, 0, s4
	v_rcp_iflag_f32_e32 v1, v1
	v_mul_f32_e32 v1, 0x4f7ffffe, v1
	v_cvt_u32_f32_e32 v1, v1
	v_readfirstlane_b32 s1, v1
	s_mul_i32 s0, s0, s1
	s_mul_hi_u32 s0, s1, s0
	s_add_i32 s1, s1, s0
	s_mul_hi_u32 s0, s6, s1
	s_mul_i32 s8, s0, s4
	s_sub_i32 s8, s6, s8
	s_add_i32 s1, s0, 1
	s_sub_i32 s9, s8, s4
	s_cmp_ge_u32 s8, s4
	s_cselect_b32 s0, s1, s0
	s_cselect_b32 s8, s9, s8
	s_add_i32 s1, s0, 1
	s_cmp_ge_u32 s8, s4
	s_cselect_b32 s8, s1, s0
	s_mov_b32 s9, s7
.LBB0_5:
	s_mul_i32 s0, s8, s5
	s_mul_hi_u32 s1, s8, s4
	s_load_dwordx4 s[20:23], s[14:15], 0x0
	s_add_i32 s1, s1, s0
	s_mul_i32 s0, s8, s4
	s_sub_u32 s33, s6, s0
	s_subb_u32 s0, 0, s1
	s_mul_i32 s0, s0, 7
	s_waitcnt lgkmcnt(0)
	s_mul_hi_u32 s21, s33, 7
	s_add_i32 s21, s21, s0
	s_mul_i32 s33, s33, 7
	s_mul_i32 s0, s22, s21
	s_mul_hi_u32 s1, s22, s33
	s_add_i32 s0, s1, s0
	s_mul_i32 s1, s23, s33
	s_add_i32 s34, s0, s1
	v_cmp_lt_u64_e64 s[0:1], s[10:11], 3
	s_mul_i32 s23, s22, s33
	s_and_b64 vcc, exec, s[0:1]
	s_cbranch_vccnz .LBB0_13
; %bb.6:
	s_add_u32 s18, s14, 16
	s_addc_u32 s19, s15, 0
	s_add_u32 s12, s12, 16
	v_mov_b32_e32 v1, s10
	s_addc_u32 s13, s13, 0
	s_mov_b64 s[24:25], 2
	s_mov_b32 s26, 0
	v_mov_b32_e32 v2, s11
.LBB0_7:                                ; =>This Inner Loop Header: Depth=1
	s_load_dwordx2 s[28:29], s[12:13], 0x0
	s_waitcnt lgkmcnt(0)
	s_or_b64 s[0:1], s[8:9], s[28:29]
	s_mov_b32 s27, s1
	s_cmp_lg_u64 s[26:27], 0
	s_cbranch_scc0 .LBB0_12
; %bb.8:                                ;   in Loop: Header=BB0_7 Depth=1
	v_cvt_f32_u32_e32 v3, s28
	v_cvt_f32_u32_e32 v4, s29
	s_sub_u32 s0, 0, s28
	s_subb_u32 s1, 0, s29
	v_mac_f32_e32 v3, 0x4f800000, v4
	v_rcp_f32_e32 v3, v3
	v_mul_f32_e32 v3, 0x5f7ffffc, v3
	v_mul_f32_e32 v4, 0x2f800000, v3
	v_trunc_f32_e32 v4, v4
	v_mac_f32_e32 v3, 0xcf800000, v4
	v_cvt_u32_f32_e32 v4, v4
	v_cvt_u32_f32_e32 v3, v3
	v_readfirstlane_b32 s27, v4
	v_readfirstlane_b32 s30, v3
	s_mul_i32 s31, s0, s27
	s_mul_hi_u32 s36, s0, s30
	s_mul_i32 s35, s1, s30
	s_add_i32 s31, s36, s31
	s_mul_i32 s37, s0, s30
	s_add_i32 s31, s31, s35
	s_mul_hi_u32 s35, s30, s31
	s_mul_i32 s36, s30, s31
	s_mul_hi_u32 s30, s30, s37
	s_add_u32 s30, s30, s36
	s_addc_u32 s35, 0, s35
	s_mul_hi_u32 s38, s27, s37
	s_mul_i32 s37, s27, s37
	s_add_u32 s30, s30, s37
	s_mul_hi_u32 s36, s27, s31
	s_addc_u32 s30, s35, s38
	s_addc_u32 s35, s36, 0
	s_mul_i32 s31, s27, s31
	s_add_u32 s30, s30, s31
	s_addc_u32 s31, 0, s35
	v_add_co_u32_e32 v3, vcc, s30, v3
	s_cmp_lg_u64 vcc, 0
	s_addc_u32 s27, s27, s31
	v_readfirstlane_b32 s31, v3
	s_mul_i32 s30, s0, s27
	s_mul_hi_u32 s35, s0, s31
	s_add_i32 s30, s35, s30
	s_mul_i32 s1, s1, s31
	s_add_i32 s30, s30, s1
	s_mul_i32 s0, s0, s31
	s_mul_hi_u32 s35, s27, s0
	s_mul_i32 s36, s27, s0
	s_mul_i32 s38, s31, s30
	s_mul_hi_u32 s0, s31, s0
	s_mul_hi_u32 s37, s31, s30
	s_add_u32 s0, s0, s38
	s_addc_u32 s31, 0, s37
	s_add_u32 s0, s0, s36
	s_mul_hi_u32 s1, s27, s30
	s_addc_u32 s0, s31, s35
	s_addc_u32 s1, s1, 0
	s_mul_i32 s30, s27, s30
	s_add_u32 s0, s0, s30
	s_addc_u32 s1, 0, s1
	v_add_co_u32_e32 v3, vcc, s0, v3
	s_cmp_lg_u64 vcc, 0
	s_addc_u32 s0, s27, s1
	v_readfirstlane_b32 s30, v3
	s_mul_i32 s27, s8, s0
	s_mul_hi_u32 s31, s8, s30
	s_mul_hi_u32 s1, s8, s0
	s_add_u32 s27, s31, s27
	s_addc_u32 s1, 0, s1
	s_mul_hi_u32 s35, s9, s30
	s_mul_i32 s30, s9, s30
	s_add_u32 s27, s27, s30
	s_mul_hi_u32 s31, s9, s0
	s_addc_u32 s1, s1, s35
	s_addc_u32 s27, s31, 0
	s_mul_i32 s0, s9, s0
	s_add_u32 s30, s1, s0
	s_addc_u32 s27, 0, s27
	s_mul_i32 s0, s28, s27
	s_mul_hi_u32 s1, s28, s30
	s_add_i32 s0, s1, s0
	s_mul_i32 s1, s29, s30
	s_add_i32 s31, s0, s1
	s_mul_i32 s1, s28, s30
	v_mov_b32_e32 v3, s1
	s_sub_i32 s0, s9, s31
	v_sub_co_u32_e32 v3, vcc, s8, v3
	s_cmp_lg_u64 vcc, 0
	s_subb_u32 s35, s0, s29
	v_subrev_co_u32_e64 v4, s[0:1], s28, v3
	s_cmp_lg_u64 s[0:1], 0
	s_subb_u32 s0, s35, 0
	s_cmp_ge_u32 s0, s29
	v_readfirstlane_b32 s35, v4
	s_cselect_b32 s1, -1, 0
	s_cmp_ge_u32 s35, s28
	s_cselect_b32 s35, -1, 0
	s_cmp_eq_u32 s0, s29
	s_cselect_b32 s0, s35, s1
	s_add_u32 s1, s30, 1
	s_addc_u32 s35, s27, 0
	s_add_u32 s36, s30, 2
	s_addc_u32 s37, s27, 0
	s_cmp_lg_u32 s0, 0
	s_cselect_b32 s0, s36, s1
	s_cselect_b32 s1, s37, s35
	s_cmp_lg_u64 vcc, 0
	s_subb_u32 s31, s9, s31
	s_cmp_ge_u32 s31, s29
	v_readfirstlane_b32 s36, v3
	s_cselect_b32 s35, -1, 0
	s_cmp_ge_u32 s36, s28
	s_cselect_b32 s36, -1, 0
	s_cmp_eq_u32 s31, s29
	s_cselect_b32 s31, s36, s35
	s_cmp_lg_u32 s31, 0
	s_cselect_b32 s1, s1, s27
	s_cselect_b32 s0, s0, s30
	s_cbranch_execnz .LBB0_10
.LBB0_9:                                ;   in Loop: Header=BB0_7 Depth=1
	v_cvt_f32_u32_e32 v3, s28
	s_sub_i32 s0, 0, s28
	v_rcp_iflag_f32_e32 v3, v3
	v_mul_f32_e32 v3, 0x4f7ffffe, v3
	v_cvt_u32_f32_e32 v3, v3
	v_readfirstlane_b32 s1, v3
	s_mul_i32 s0, s0, s1
	s_mul_hi_u32 s0, s1, s0
	s_add_i32 s1, s1, s0
	s_mul_hi_u32 s0, s8, s1
	s_mul_i32 s27, s0, s28
	s_sub_i32 s27, s8, s27
	s_add_i32 s1, s0, 1
	s_sub_i32 s30, s27, s28
	s_cmp_ge_u32 s27, s28
	s_cselect_b32 s0, s1, s0
	s_cselect_b32 s27, s30, s27
	s_add_i32 s1, s0, 1
	s_cmp_ge_u32 s27, s28
	s_cselect_b32 s0, s1, s0
	s_mov_b32 s1, s26
.LBB0_10:                               ;   in Loop: Header=BB0_7 Depth=1
	s_mul_i32 s5, s28, s5
	s_mul_hi_u32 s27, s28, s4
	s_add_i32 s5, s27, s5
	s_mul_i32 s27, s29, s4
	s_add_i32 s5, s5, s27
	s_mul_i32 s27, s0, s29
	s_mul_hi_u32 s29, s0, s28
	s_load_dwordx2 s[30:31], s[18:19], 0x0
	s_add_i32 s27, s29, s27
	s_mul_i32 s29, s1, s28
	s_mul_i32 s4, s28, s4
	s_add_i32 s27, s27, s29
	s_mul_i32 s28, s0, s28
	s_sub_u32 s8, s8, s28
	s_subb_u32 s9, s9, s27
	s_waitcnt lgkmcnt(0)
	s_mul_i32 s9, s30, s9
	s_mul_hi_u32 s27, s30, s8
	s_add_i32 s9, s27, s9
	s_mul_i32 s27, s31, s8
	s_add_i32 s9, s9, s27
	s_mul_i32 s8, s30, s8
	s_add_u32 s23, s8, s23
	s_addc_u32 s34, s9, s34
	s_add_u32 s24, s24, 1
	s_addc_u32 s25, s25, 0
	;; [unrolled: 2-line block ×3, first 2 shown]
	v_cmp_ge_u64_e32 vcc, s[24:25], v[1:2]
	s_add_u32 s12, s12, 8
	s_addc_u32 s13, s13, 0
	s_cbranch_vccnz .LBB0_14
; %bb.11:                               ;   in Loop: Header=BB0_7 Depth=1
	s_mov_b64 s[8:9], s[0:1]
	s_branch .LBB0_7
.LBB0_12:                               ;   in Loop: Header=BB0_7 Depth=1
                                        ; implicit-def: $sgpr0_sgpr1
	s_branch .LBB0_9
.LBB0_13:
	v_mov_b32_e32 v1, s8
	v_mov_b32_e32 v2, s9
	s_branch .LBB0_16
.LBB0_14:
	v_mov_b32_e32 v1, s4
	v_mov_b32_e32 v2, s5
	v_cmp_lt_u64_e32 vcc, s[6:7], v[1:2]
	v_mov_b32_e32 v1, 0
	v_mov_b32_e32 v2, 0
	s_cbranch_vccnz .LBB0_16
; %bb.15:
	v_cvt_f32_u32_e32 v1, s4
	s_sub_i32 s0, 0, s4
	v_rcp_iflag_f32_e32 v1, v1
	v_mul_f32_e32 v1, 0x4f7ffffe, v1
	v_cvt_u32_f32_e32 v1, v1
	v_mul_lo_u32 v2, s0, v1
	v_mul_hi_u32 v2, v1, v2
	v_add_u32_e32 v1, v1, v2
	v_mul_hi_u32 v1, s6, v1
	v_mul_lo_u32 v2, v1, s4
	v_add_u32_e32 v3, 1, v1
	v_sub_u32_e32 v2, s6, v2
	v_subrev_u32_e32 v4, s4, v2
	v_cmp_le_u32_e32 vcc, s4, v2
	v_cndmask_b32_e32 v2, v2, v4, vcc
	v_cndmask_b32_e32 v1, v1, v3, vcc
	v_add_u32_e32 v3, 1, v1
	v_cmp_le_u32_e32 vcc, s4, v2
	v_cndmask_b32_e32 v1, v1, v3, vcc
.LBB0_16:
	s_lshl_b64 s[0:1], s[10:11], 3
	s_add_u32 s0, s14, s0
	s_addc_u32 s1, s15, s1
	s_load_dword s0, s[0:1], 0x0
	s_mov_b32 s1, 0x24924925
	v_mul_hi_u32 v108, v0, s1
	v_mov_b32_e32 v2, s21
	s_mov_b32 s19, 0x20000
	s_waitcnt lgkmcnt(0)
	v_mul_lo_u32 v1, s0, v1
	v_mul_u32_u24_e32 v3, 7, v108
	v_sub_u32_e32 v110, v0, v3
	v_add_co_u32_e32 v65, vcc, s33, v110
	v_add_u32_e32 v3, s23, v1
	v_addc_co_u32_e32 v66, vcc, 0, v2, vcc
	s_add_u32 s0, s33, 7
	v_mul_lo_u32 v109, s22, v110
	v_mul_lo_u32 v4, s20, v108
	v_mov_b32_e32 v1, s2
	s_addc_u32 s1, s21, 0
	v_mov_b32_e32 v2, s3
	v_cmp_le_u64_e32 vcc, s[0:1], v[1:2]
	v_cmp_gt_u64_e64 s[0:1], s[2:3], v[65:66]
	v_add_lshl_u32 v1, v109, v4, 4
	s_or_b64 vcc, vcc, s[0:1]
	v_cndmask_b32_e32 v5, -1, v1, vcc
	v_add_u32_e32 v1, 17, v108
	v_mul_lo_u32 v1, s20, v1
	v_lshlrev_b32_e32 v2, 4, v3
	s_mov_b32 s18, -2
	v_readfirstlane_b32 s21, v2
	v_add_lshl_u32 v1, v109, v1, 4
	v_cndmask_b32_e32 v6, -1, v1, vcc
	s_nop 2
	buffer_load_dwordx4 v[45:48], v5, s[16:19], s21 offen
	buffer_load_dwordx4 v[1:4], v6, s[16:19], s21 offen
	v_add_u32_e32 v5, 34, v108
	v_mul_lo_u32 v5, s20, v5
	v_add_u32_e32 v9, 0x99, v108
	v_add_u32_e32 v6, 0x110, v108
	v_mul_lo_u32 v10, s20, v6
	v_mul_lo_u32 v9, s20, v9
	v_add_lshl_u32 v5, v109, v5, 4
	v_cndmask_b32_e32 v5, -1, v5, vcc
	v_add_lshl_u32 v10, v109, v10, 4
	v_add_lshl_u32 v9, v109, v9, 4
	buffer_load_dwordx4 v[53:56], v5, s[16:19], s21 offen
	v_cndmask_b32_e32 v10, -1, v10, vcc
	v_cndmask_b32_e32 v9, -1, v9, vcc
	buffer_load_dwordx4 v[61:64], v10, s[16:19], s21 offen
	v_add_u32_e32 v17, 0xaa, v108
	buffer_load_dwordx4 v[9:12], v9, s[16:19], s21 offen
	v_add_u32_e32 v5, 51, v108
	v_mul_lo_u32 v5, s20, v5
	v_mul_lo_u32 v17, s20, v17
	v_add_u32_e32 v18, 0xbb, v108
	v_mul_lo_u32 v25, s20, v18
	v_add_lshl_u32 v5, v109, v5, 4
	v_cndmask_b32_e32 v5, -1, v5, vcc
	v_add_lshl_u32 v17, v109, v17, 4
	buffer_load_dwordx4 v[41:44], v5, s[16:19], s21 offen
	v_cndmask_b32_e32 v17, -1, v17, vcc
	buffer_load_dwordx4 v[17:20], v17, s[16:19], s21 offen
	v_add_u32_e32 v5, 0x44, v108
	v_mul_lo_u32 v5, s20, v5
	v_add_lshl_u32 v25, v109, v25, 4
	v_add_u32_e32 v26, 0xcc, v108
	v_cndmask_b32_e32 v25, -1, v25, vcc
	v_add_lshl_u32 v5, v109, v5, 4
	v_cndmask_b32_e32 v5, -1, v5, vcc
	buffer_load_dwordx4 v[33:36], v5, s[16:19], s21 offen
	v_mul_lo_u32 v49, s20, v26
	buffer_load_dwordx4 v[25:28], v25, s[16:19], s21 offen
	v_add_u32_e32 v5, 0x55, v108
	v_mul_lo_u32 v5, s20, v5
	v_add_lshl_u32 v49, v109, v49, 4
	v_cndmask_b32_e32 v49, -1, v49, vcc
	v_add_u32_e32 v50, 0xdd, v108
	v_add_lshl_u32 v5, v109, v5, 4
	v_cndmask_b32_e32 v5, -1, v5, vcc
	buffer_load_dwordx4 v[29:32], v5, s[16:19], s21 offen
	v_mul_lo_u32 v50, s20, v50
	v_add_u32_e32 v67, 0xff, v108
	v_mul_lo_u32 v67, s20, v67
	s_mov_b32 s34, 0x5d8e7cdc
	s_mov_b32 s35, 0xbfd71e95
	;; [unrolled: 1-line block ×31, first 2 shown]
	s_waitcnt vmcnt(8)
	v_add_f64 v[37:38], v[45:46], v[1:2]
	v_add_f64 v[39:40], v[47:48], v[3:4]
	s_mov_b32 s53, 0xbfef7484
	s_mov_b32 s38, 0x6c9a05f6
	;; [unrolled: 1-line block ×9, first 2 shown]
	s_waitcnt vmcnt(7)
	v_add_f64 v[57:58], v[37:38], v[53:54]
	v_add_f64 v[59:60], v[39:40], v[55:56]
	buffer_load_dwordx4 v[37:40], v49, s[16:19], s21 offen
	v_add_u32_e32 v5, 0x66, v108
	v_mul_lo_u32 v5, s20, v5
	v_add_u32_e32 v49, 0xee, v108
	v_mul_lo_u32 v66, s20, v49
	v_add_lshl_u32 v49, v109, v50, 4
	v_add_lshl_u32 v5, v109, v5, 4
	v_cndmask_b32_e32 v5, -1, v5, vcc
	buffer_load_dwordx4 v[21:24], v5, s[16:19], s21 offen
	v_cndmask_b32_e32 v49, -1, v49, vcc
	buffer_load_dwordx4 v[49:52], v49, s[16:19], s21 offen
	v_add_u32_e32 v5, 0x77, v108
	s_waitcnt vmcnt(7)
	v_add_f64 v[57:58], v[57:58], v[41:42]
	v_add_f64 v[59:60], v[59:60], v[43:44]
	v_mul_lo_u32 v5, s20, v5
	v_add_lshl_u32 v66, v109, v66, 4
	v_cndmask_b32_e32 v66, -1, v66, vcc
	v_add_f64 v[74:75], v[3:4], -v[63:64]
	v_add_lshl_u32 v5, v109, v5, 4
	v_cndmask_b32_e32 v5, -1, v5, vcc
	buffer_load_dwordx4 v[13:16], v5, s[16:19], s21 offen
	v_add_f64 v[76:77], v[3:4], v[63:64]
	s_waitcnt vmcnt(6)
	v_add_f64 v[70:71], v[57:58], v[33:34]
	v_add_f64 v[72:73], v[59:60], v[35:36]
	buffer_load_dwordx4 v[57:60], v66, s[16:19], s21 offen
	v_add_u32_e32 v5, 0x88, v108
	v_mul_lo_u32 v5, s20, v5
	v_add_lshl_u32 v66, v109, v67, 4
	v_cndmask_b32_e32 v66, -1, v66, vcc
	buffer_load_dwordx4 v[66:69], v66, s[16:19], s21 offen
	v_add_lshl_u32 v5, v109, v5, 4
	v_cndmask_b32_e32 v5, -1, v5, vcc
	buffer_load_dwordx4 v[5:8], v5, s[16:19], s21 offen
	s_waitcnt vmcnt(7)
	v_add_f64 v[70:71], v[70:71], v[29:30]
	v_add_f64 v[72:73], v[72:73], v[31:32]
	v_add_f64 v[78:79], v[1:2], -v[61:62]
	v_mul_f64 v[84:85], v[76:77], s[24:25]
	v_mul_f64 v[86:87], v[74:75], s[22:23]
	;; [unrolled: 1-line block ×8, first 2 shown]
	v_fma_f64 v[104:105], v[78:79], s[26:27], v[84:85]
	v_fma_f64 v[84:85], v[78:79], s[28:29], v[84:85]
	;; [unrolled: 1-line block ×3, first 2 shown]
	v_mul_f64 v[121:122], v[76:77], s[40:41]
	v_mul_f64 v[123:124], v[74:75], s[44:45]
	;; [unrolled: 1-line block ×3, first 2 shown]
	s_mov_b32 s39, 0xbfe9895b
	s_mov_b32 s43, 0x3fe9895b
	;; [unrolled: 1-line block ×8, first 2 shown]
	v_mul_f64 v[82:83], v[74:75], s[28:29]
	v_fma_f64 v[100:101], v[78:79], s[36:37], v[80:81]
	v_fma_f64 v[80:81], v[78:79], s[34:35], v[80:81]
	;; [unrolled: 1-line block ×9, first 2 shown]
	v_add_f64 v[100:101], v[47:48], v[100:101]
	v_add_f64 v[80:81], v[47:48], v[80:81]
	;; [unrolled: 1-line block ×8, first 2 shown]
	s_mov_b32 s33, 0xf0f0f10
	s_waitcnt vmcnt(5)
	v_add_f64 v[70:71], v[70:71], v[21:22]
	v_add_f64 v[72:73], v[72:73], v[23:24]
	s_waitcnt vmcnt(4)
	v_add_f64 v[155:156], v[35:36], -v[51:52]
	v_add_f64 v[157:158], v[35:36], v[51:52]
	s_waitcnt vmcnt(3)
	v_add_f64 v[70:71], v[70:71], v[13:14]
	v_add_f64 v[72:73], v[72:73], v[15:16]
	s_waitcnt vmcnt(1)
	v_add_f64 v[133:134], v[55:56], v[68:69]
	v_add_f64 v[55:56], v[55:56], -v[68:69]
	v_add_f64 v[135:136], v[53:54], v[66:67]
	s_waitcnt vmcnt(0)
	v_add_f64 v[70:71], v[70:71], v[5:6]
	v_add_f64 v[72:73], v[72:73], v[7:8]
	v_add_f64 v[53:54], v[53:54], -v[66:67]
	v_mul_f64 v[137:138], v[133:134], s[24:25]
	v_add_f64 v[3:4], v[70:71], v[9:10]
	v_add_f64 v[70:71], v[72:73], v[11:12]
	;; [unrolled: 1-line block ×3, first 2 shown]
	v_mul_f64 v[1:2], v[74:75], s[34:35]
	v_add_f64 v[3:4], v[3:4], v[17:18]
	v_add_f64 v[70:71], v[70:71], v[19:20]
	v_fma_f64 v[106:107], v[72:73], s[14:15], v[86:87]
	v_fma_f64 v[98:99], v[72:73], s[30:31], v[1:2]
	v_fma_f64 v[1:2], v[72:73], s[30:31], -v[1:2]
	v_fma_f64 v[113:114], v[72:73], s[2:3], v[90:91]
	v_fma_f64 v[117:118], v[72:73], s[10:11], v[94:95]
	;; [unrolled: 1-line block ×3, first 2 shown]
	v_add_f64 v[3:4], v[3:4], v[25:26]
	v_add_f64 v[70:71], v[70:71], v[27:28]
	v_fma_f64 v[123:124], v[72:73], s[46:47], -v[123:124]
	v_fma_f64 v[102:103], v[72:73], s[24:25], v[82:83]
	v_add_f64 v[119:120], v[45:46], v[1:2]
	v_fma_f64 v[82:83], v[72:73], s[24:25], -v[82:83]
	v_fma_f64 v[86:87], v[72:73], s[14:15], -v[86:87]
	v_fma_f64 v[90:91], v[72:73], s[2:3], -v[90:91]
	v_add_f64 v[3:4], v[3:4], v[37:38]
	v_add_f64 v[70:71], v[70:71], v[39:40]
	;; [unrolled: 1-line block ×3, first 2 shown]
	v_fma_f64 v[94:95], v[72:73], s[10:11], -v[94:95]
	v_add_f64 v[102:103], v[45:46], v[102:103]
	v_add_f64 v[82:83], v[45:46], v[82:83]
	;; [unrolled: 1-line block ×12, first 2 shown]
	v_mul_f64 v[68:69], v[76:77], s[52:53]
	v_add_f64 v[70:71], v[47:48], v[84:85]
	v_add_f64 v[84:85], v[45:46], v[106:107]
	v_add_f64 v[106:107], v[47:48], v[111:112]
	v_add_f64 v[111:112], v[45:46], v[113:114]
	v_mul_f64 v[113:114], v[74:75], s[38:39]
	v_add_f64 v[1:2], v[1:2], v[61:62]
	v_fma_f64 v[61:62], v[78:79], s[12:13], v[96:97]
	v_fma_f64 v[96:97], v[78:79], s[6:7], v[96:97]
	v_mul_f64 v[74:75], v[74:75], s[50:51]
	v_mul_f64 v[66:67], v[55:56], s[28:29]
	v_fma_f64 v[139:140], v[78:79], s[54:55], v[68:69]
	v_fma_f64 v[68:69], v[78:79], s[50:51], v[68:69]
	v_add_f64 v[3:4], v[3:4], v[63:64]
	v_add_f64 v[63:64], v[47:48], v[115:116]
	;; [unrolled: 1-line block ×4, first 2 shown]
	v_fma_f64 v[117:118], v[72:73], s[40:41], v[113:114]
	v_fma_f64 v[113:114], v[72:73], s[40:41], -v[113:114]
	v_add_f64 v[96:97], v[47:48], v[96:97]
	v_fma_f64 v[76:77], v[72:73], s[52:53], v[74:75]
	v_fma_f64 v[72:73], v[72:73], s[52:53], -v[74:75]
	v_add_f64 v[74:75], v[45:46], v[123:124]
	v_add_f64 v[78:79], v[47:48], v[125:126]
	v_fma_f64 v[123:124], v[135:136], s[24:25], v[66:67]
	v_fma_f64 v[125:126], v[53:54], s[26:27], v[137:138]
	v_add_f64 v[139:140], v[47:48], v[139:140]
	v_add_f64 v[47:48], v[47:48], v[68:69]
	v_mul_f64 v[68:69], v[55:56], s[0:1]
	v_add_f64 v[117:118], v[45:46], v[117:118]
	v_add_f64 v[113:114], v[45:46], v[113:114]
	;; [unrolled: 1-line block ×4, first 2 shown]
	v_mul_f64 v[72:73], v[133:134], s[2:3]
	v_add_f64 v[98:99], v[123:124], v[98:99]
	v_add_f64 v[100:101], v[125:126], v[100:101]
	v_fma_f64 v[66:67], v[135:136], s[24:25], -v[66:67]
	v_fma_f64 v[123:124], v[53:54], s[28:29], v[137:138]
	v_mul_f64 v[125:126], v[55:56], s[38:39]
	v_mul_f64 v[137:138], v[133:134], s[40:41]
	v_fma_f64 v[141:142], v[135:136], s[2:3], v[68:69]
	v_fma_f64 v[68:69], v[135:136], s[2:3], -v[68:69]
	v_fma_f64 v[143:144], v[53:54], s[4:5], v[72:73]
	v_fma_f64 v[72:73], v[53:54], s[0:1], v[72:73]
	v_add_f64 v[66:67], v[66:67], v[119:120]
	v_add_f64 v[80:81], v[123:124], v[80:81]
	v_fma_f64 v[119:120], v[135:136], s[40:41], v[125:126]
	v_fma_f64 v[123:124], v[53:54], s[42:43], v[137:138]
	v_add_f64 v[102:103], v[141:142], v[102:103]
	v_add_f64 v[68:69], v[68:69], v[82:83]
	v_mul_f64 v[82:83], v[133:134], s[52:53]
	v_add_f64 v[104:105], v[143:144], v[104:105]
	v_add_f64 v[70:71], v[72:73], v[70:71]
	v_mul_f64 v[72:73], v[55:56], s[50:51]
	v_add_f64 v[84:85], v[119:120], v[84:85]
	v_add_f64 v[106:107], v[123:124], v[106:107]
	v_fma_f64 v[119:120], v[135:136], s[40:41], -v[125:126]
	v_fma_f64 v[123:124], v[53:54], s[38:39], v[137:138]
	v_mul_f64 v[125:126], v[55:56], s[48:49]
	v_mul_f64 v[137:138], v[133:134], s[46:47]
	v_fma_f64 v[143:144], v[53:54], s[54:55], v[82:83]
	v_fma_f64 v[82:83], v[53:54], s[50:51], v[82:83]
	;; [unrolled: 1-line block ×3, first 2 shown]
	v_fma_f64 v[72:73], v[135:136], s[52:53], -v[72:73]
	v_add_f64 v[86:87], v[119:120], v[86:87]
	v_add_f64 v[88:89], v[123:124], v[88:89]
	v_fma_f64 v[119:120], v[135:136], s[46:47], v[125:126]
	v_fma_f64 v[123:124], v[53:54], s[44:45], v[137:138]
	v_add_f64 v[63:64], v[143:144], v[63:64]
	v_add_f64 v[82:83], v[82:83], v[92:93]
	v_mul_f64 v[92:93], v[133:134], s[10:11]
	v_add_f64 v[72:73], v[72:73], v[90:91]
	v_mul_f64 v[90:91], v[55:56], s[12:13]
	v_fma_f64 v[125:126], v[135:136], s[46:47], -v[125:126]
	v_add_f64 v[115:116], v[119:120], v[115:116]
	v_add_f64 v[61:62], v[123:124], v[61:62]
	v_mul_f64 v[119:120], v[55:56], s[8:9]
	v_mul_f64 v[123:124], v[133:134], s[14:15]
	v_fma_f64 v[143:144], v[53:54], s[6:7], v[92:93]
	v_add_f64 v[111:112], v[141:142], v[111:112]
	v_fma_f64 v[137:138], v[53:54], s[48:49], v[137:138]
	v_fma_f64 v[141:142], v[135:136], s[10:11], v[90:91]
	v_fma_f64 v[90:91], v[135:136], s[10:11], -v[90:91]
	v_fma_f64 v[92:93], v[53:54], s[12:13], v[92:93]
	v_fma_f64 v[145:146], v[135:136], s[14:15], v[119:120]
	;; [unrolled: 1-line block ×3, first 2 shown]
	v_add_f64 v[94:95], v[125:126], v[94:95]
	v_add_f64 v[125:126], v[143:144], v[127:128]
	v_add_f64 v[127:128], v[43:44], -v[59:60]
	v_add_f64 v[43:44], v[43:44], v[59:60]
	v_mul_f64 v[55:56], v[55:56], s[36:37]
	v_mul_f64 v[59:60], v[133:134], s[30:31]
	v_add_f64 v[96:97], v[137:138], v[96:97]
	v_add_f64 v[90:91], v[90:91], v[113:114]
	;; [unrolled: 1-line block ×5, first 2 shown]
	v_fma_f64 v[119:120], v[135:136], s[14:15], -v[119:120]
	v_fma_f64 v[123:124], v[53:54], s[8:9], v[123:124]
	v_add_f64 v[129:130], v[41:42], v[57:58]
	v_add_f64 v[41:42], v[41:42], -v[57:58]
	v_mul_f64 v[57:58], v[127:128], s[22:23]
	v_mul_f64 v[131:132], v[43:44], s[14:15]
	v_fma_f64 v[133:134], v[135:136], s[30:31], v[55:56]
	v_fma_f64 v[137:138], v[53:54], s[34:35], v[59:60]
	v_fma_f64 v[55:56], v[135:136], s[30:31], -v[55:56]
	v_fma_f64 v[53:54], v[53:54], s[36:37], v[59:60]
	v_add_f64 v[59:60], v[119:120], v[74:75]
	v_add_f64 v[74:75], v[123:124], v[78:79]
	v_fma_f64 v[78:79], v[129:130], s[14:15], v[57:58]
	v_fma_f64 v[119:120], v[41:42], s[8:9], v[131:132]
	v_add_f64 v[76:77], v[133:134], v[76:77]
	v_fma_f64 v[57:58], v[129:130], s[14:15], -v[57:58]
	v_add_f64 v[45:46], v[55:56], v[45:46]
	v_add_f64 v[47:48], v[53:54], v[47:48]
	v_mul_f64 v[53:54], v[127:128], s[38:39]
	v_mul_f64 v[55:56], v[43:44], s[40:41]
	v_add_f64 v[78:79], v[78:79], v[98:99]
	v_add_f64 v[119:120], v[119:120], v[100:101]
	v_fma_f64 v[98:99], v[41:42], s[22:23], v[131:132]
	v_mul_f64 v[100:101], v[127:128], s[54:55]
	v_mul_f64 v[131:132], v[43:44], s[52:53]
	v_add_f64 v[57:58], v[57:58], v[66:67]
	v_fma_f64 v[133:134], v[129:130], s[40:41], v[53:54]
	v_fma_f64 v[135:136], v[41:42], s[42:43], v[55:56]
	v_fma_f64 v[53:54], v[129:130], s[40:41], -v[53:54]
	v_fma_f64 v[55:56], v[41:42], s[38:39], v[55:56]
	v_add_f64 v[66:67], v[98:99], v[80:81]
	v_fma_f64 v[80:81], v[129:130], s[52:53], v[100:101]
	v_fma_f64 v[98:99], v[41:42], s[50:51], v[131:132]
	v_add_f64 v[123:124], v[137:138], v[139:140]
	v_add_f64 v[133:134], v[133:134], v[102:103]
	;; [unrolled: 1-line block ×5, first 2 shown]
	v_mul_f64 v[68:69], v[127:128], s[12:13]
	v_mul_f64 v[70:71], v[43:44], s[10:11]
	v_add_f64 v[137:138], v[80:81], v[84:85]
	v_add_f64 v[139:140], v[98:99], v[106:107]
	v_fma_f64 v[80:81], v[129:130], s[52:53], -v[100:101]
	v_fma_f64 v[84:85], v[41:42], s[54:55], v[131:132]
	v_mul_f64 v[98:99], v[127:128], s[26:27]
	v_mul_f64 v[100:101], v[43:44], s[24:25]
	v_fma_f64 v[102:103], v[129:130], s[10:11], v[68:69]
	v_fma_f64 v[104:105], v[41:42], s[6:7], v[70:71]
	v_fma_f64 v[68:69], v[129:130], s[10:11], -v[68:69]
	v_fma_f64 v[70:71], v[41:42], s[12:13], v[70:71]
	v_add_f64 v[117:118], v[141:142], v[117:118]
	v_add_f64 v[86:87], v[80:81], v[86:87]
	;; [unrolled: 1-line block ×3, first 2 shown]
	v_fma_f64 v[80:81], v[129:130], s[24:25], v[98:99]
	v_fma_f64 v[84:85], v[41:42], s[28:29], v[100:101]
	v_mul_f64 v[35:36], v[127:128], s[44:45]
	v_add_f64 v[141:142], v[68:69], v[72:73]
	v_add_f64 v[143:144], v[70:71], v[82:83]
	v_mul_f64 v[68:69], v[127:128], s[34:35]
	v_mul_f64 v[70:71], v[43:44], s[30:31]
	;; [unrolled: 1-line block ×3, first 2 shown]
	v_add_f64 v[115:116], v[80:81], v[115:116]
	v_add_f64 v[145:146], v[84:85], v[61:62]
	v_fma_f64 v[80:81], v[129:130], s[24:25], -v[98:99]
	v_mul_f64 v[61:62], v[127:128], s[0:1]
	v_fma_f64 v[82:83], v[41:42], s[26:27], v[100:101]
	v_fma_f64 v[84:85], v[129:130], s[30:31], v[68:69]
	;; [unrolled: 1-line block ×3, first 2 shown]
	v_fma_f64 v[68:69], v[129:130], s[30:31], -v[68:69]
	v_fma_f64 v[70:71], v[41:42], s[34:35], v[70:71]
	v_fma_f64 v[100:101], v[41:42], s[4:5], v[72:73]
	v_add_f64 v[147:148], v[80:81], v[94:95]
	v_mul_f64 v[43:44], v[43:44], s[46:47]
	v_add_f64 v[94:95], v[33:34], -v[49:50]
	v_fma_f64 v[98:99], v[129:130], s[2:3], v[61:62]
	v_fma_f64 v[51:52], v[129:130], s[2:3], -v[61:62]
	v_add_f64 v[151:152], v[68:69], v[90:91]
	v_add_f64 v[153:154], v[70:71], v[92:93]
	;; [unrolled: 1-line block ×3, first 2 shown]
	v_mul_f64 v[33:34], v[155:156], s[0:1]
	v_fma_f64 v[68:69], v[129:130], s[46:47], v[35:36]
	v_fma_f64 v[35:36], v[129:130], s[46:47], -v[35:36]
	v_add_f64 v[121:122], v[100:101], v[121:122]
	v_fma_f64 v[61:62], v[41:42], s[0:1], v[72:73]
	v_mul_f64 v[49:50], v[157:158], s[2:3]
	v_fma_f64 v[70:71], v[41:42], s[48:49], v[43:44]
	v_fma_f64 v[41:42], v[41:42], s[44:45], v[43:44]
	;; [unrolled: 1-line block ×3, first 2 shown]
	v_add_f64 v[111:112], v[102:103], v[111:112]
	v_add_f64 v[100:101], v[35:36], v[45:46]
	v_mul_f64 v[35:36], v[155:156], s[50:51]
	v_add_f64 v[63:64], v[104:105], v[63:64]
	v_add_f64 v[125:126], v[88:89], v[125:126]
	;; [unrolled: 1-line block ×3, first 2 shown]
	v_fma_f64 v[51:52], v[94:95], s[4:5], v[49:50]
	v_add_f64 v[102:103], v[41:42], v[47:48]
	v_mul_f64 v[41:42], v[157:158], s[52:53]
	v_add_f64 v[88:89], v[43:44], v[78:79]
	v_fma_f64 v[33:34], v[92:93], s[2:3], -v[33:34]
	v_fma_f64 v[43:44], v[94:95], s[0:1], v[49:50]
	v_mul_f64 v[45:46], v[155:156], s[12:13]
	v_fma_f64 v[49:50], v[92:93], s[52:53], v[35:36]
	v_fma_f64 v[35:36], v[92:93], s[52:53], -v[35:36]
	v_add_f64 v[149:150], v[82:83], v[96:97]
	v_add_f64 v[90:91], v[51:52], v[119:120]
	v_mul_f64 v[47:48], v[157:158], s[10:11]
	v_fma_f64 v[51:52], v[94:95], s[54:55], v[41:42]
	v_fma_f64 v[41:42], v[94:95], s[50:51], v[41:42]
	v_add_f64 v[82:83], v[33:34], v[57:58]
	v_fma_f64 v[33:34], v[92:93], s[10:11], v[45:46]
	v_add_f64 v[78:79], v[35:36], v[53:54]
	v_mul_f64 v[35:36], v[155:156], s[36:37]
	v_add_f64 v[117:118], v[84:85], v[117:118]
	v_add_f64 v[113:114], v[98:99], v[113:114]
	;; [unrolled: 1-line block ×5, first 2 shown]
	v_fma_f64 v[43:44], v[94:95], s[6:7], v[47:48]
	v_add_f64 v[74:75], v[49:50], v[133:134]
	v_add_f64 v[80:81], v[41:42], v[55:56]
	v_mul_f64 v[41:42], v[157:158], s[30:31]
	v_add_f64 v[70:71], v[33:34], v[137:138]
	v_fma_f64 v[33:34], v[92:93], s[10:11], -v[45:46]
	v_mul_f64 v[45:46], v[155:156], s[22:23]
	v_fma_f64 v[49:50], v[92:93], s[30:31], v[35:36]
	v_fma_f64 v[35:36], v[92:93], s[30:31], -v[35:36]
	v_add_f64 v[96:97], v[68:69], v[76:77]
	v_add_f64 v[76:77], v[51:52], v[135:136]
	v_add_f64 v[72:73], v[43:44], v[139:140]
	v_fma_f64 v[43:44], v[94:95], s[12:13], v[47:48]
	v_mul_f64 v[47:48], v[157:158], s[14:15]
	v_fma_f64 v[51:52], v[94:95], s[34:35], v[41:42]
	v_fma_f64 v[41:42], v[94:95], s[36:37], v[41:42]
	v_add_f64 v[66:67], v[33:34], v[86:87]
	v_fma_f64 v[33:34], v[92:93], s[14:15], v[45:46]
	v_add_f64 v[57:58], v[49:50], v[111:112]
	v_add_f64 v[61:62], v[35:36], v[141:142]
	v_mul_f64 v[35:36], v[155:156], s[44:45]
	v_mul_f64 v[111:112], v[155:156], s[42:43]
	v_add_f64 v[68:69], v[43:44], v[131:132]
	v_fma_f64 v[43:44], v[94:95], s[8:9], v[47:48]
	v_add_f64 v[59:60], v[51:52], v[63:64]
	v_add_f64 v[63:64], v[41:42], v[143:144]
	v_mul_f64 v[41:42], v[157:158], s[46:47]
	v_add_f64 v[53:54], v[33:34], v[115:116]
	v_mul_f64 v[115:116], v[157:158], s[40:41]
	v_fma_f64 v[33:34], v[92:93], s[14:15], -v[45:46]
	v_fma_f64 v[45:46], v[92:93], s[46:47], v[35:36]
	v_fma_f64 v[49:50], v[92:93], s[46:47], -v[35:36]
	v_fma_f64 v[86:87], v[92:93], s[40:41], v[111:112]
	v_add_f64 v[55:56], v[43:44], v[145:146]
	v_fma_f64 v[43:44], v[94:95], s[22:23], v[47:48]
	v_fma_f64 v[47:48], v[94:95], s[48:49], v[41:42]
	;; [unrolled: 1-line block ×4, first 2 shown]
	v_add_f64 v[41:42], v[45:46], v[117:118]
	v_add_f64 v[45:46], v[49:50], v[151:152]
	;; [unrolled: 1-line block ×3, first 2 shown]
	v_mul_f64 v[113:114], v[155:156], s[26:27]
	v_add_f64 v[35:36], v[43:44], v[149:150]
	v_add_f64 v[43:44], v[47:48], v[125:126]
	;; [unrolled: 1-line block ×4, first 2 shown]
	v_add_f64 v[86:87], v[31:32], -v[39:40]
	v_add_f64 v[39:40], v[31:32], v[39:40]
	v_mul_f64 v[117:118], v[157:158], s[24:25]
	v_fma_f64 v[111:112], v[92:93], s[40:41], -v[111:112]
	v_fma_f64 v[121:122], v[92:93], s[24:25], v[113:114]
	v_fma_f64 v[92:93], v[92:93], s[24:25], -v[113:114]
	v_fma_f64 v[115:116], v[94:95], s[42:43], v[115:116]
	v_add_f64 v[31:32], v[29:30], v[37:38]
	v_add_f64 v[29:30], v[29:30], -v[37:38]
	v_mul_f64 v[37:38], v[86:87], s[6:7]
	v_mul_f64 v[119:120], v[39:40], s[10:11]
	v_fma_f64 v[123:124], v[94:95], s[28:29], v[117:118]
	v_fma_f64 v[94:95], v[94:95], s[26:27], v[117:118]
	v_add_f64 v[92:93], v[92:93], v[100:101]
	v_mul_f64 v[100:101], v[86:87], s[48:49]
	v_add_f64 v[104:105], v[111:112], v[104:105]
	v_add_f64 v[106:107], v[115:116], v[106:107]
	v_fma_f64 v[111:112], v[31:32], s[10:11], v[37:38]
	v_fma_f64 v[113:114], v[29:30], s[12:13], v[119:120]
	v_fma_f64 v[37:38], v[31:32], s[10:11], -v[37:38]
	v_add_f64 v[94:95], v[94:95], v[102:103]
	v_mul_f64 v[102:103], v[39:40], s[46:47]
	v_fma_f64 v[117:118], v[31:32], s[46:47], v[100:101]
	v_fma_f64 v[100:101], v[31:32], s[46:47], -v[100:101]
	v_mul_f64 v[115:116], v[39:40], s[24:25]
	v_add_f64 v[88:89], v[111:112], v[88:89]
	v_add_f64 v[90:91], v[113:114], v[90:91]
	v_fma_f64 v[111:112], v[29:30], s[6:7], v[119:120]
	v_mul_f64 v[113:114], v[86:87], s[26:27]
	v_fma_f64 v[119:120], v[29:30], s[44:45], v[102:103]
	v_fma_f64 v[102:103], v[29:30], s[48:49], v[102:103]
	v_add_f64 v[78:79], v[100:101], v[78:79]
	v_mul_f64 v[100:101], v[86:87], s[22:23]
	v_add_f64 v[37:38], v[37:38], v[82:83]
	v_add_f64 v[74:75], v[117:118], v[74:75]
	;; [unrolled: 1-line block ×3, first 2 shown]
	v_fma_f64 v[84:85], v[31:32], s[24:25], v[113:114]
	v_fma_f64 v[111:112], v[29:30], s[28:29], v[115:116]
	v_add_f64 v[80:81], v[102:103], v[80:81]
	v_mul_f64 v[102:103], v[39:40], s[14:15]
	v_fma_f64 v[117:118], v[31:32], s[14:15], v[100:101]
	v_fma_f64 v[100:101], v[31:32], s[14:15], -v[100:101]
	v_add_f64 v[76:77], v[119:120], v[76:77]
	v_add_f64 v[33:34], v[33:34], v[147:148]
	;; [unrolled: 1-line block ×4, first 2 shown]
	v_fma_f64 v[84:85], v[31:32], s[24:25], -v[113:114]
	v_fma_f64 v[111:112], v[29:30], s[26:27], v[115:116]
	v_mul_f64 v[113:114], v[86:87], s[50:51]
	v_mul_f64 v[115:116], v[39:40], s[52:53]
	v_fma_f64 v[119:120], v[29:30], s[8:9], v[102:103]
	v_fma_f64 v[102:103], v[29:30], s[22:23], v[102:103]
	v_add_f64 v[61:62], v[100:101], v[61:62]
	v_mul_f64 v[100:101], v[86:87], s[4:5]
	v_add_f64 v[66:67], v[84:85], v[66:67]
	v_add_f64 v[68:69], v[111:112], v[68:69]
	v_fma_f64 v[84:85], v[31:32], s[52:53], v[113:114]
	v_fma_f64 v[111:112], v[29:30], s[54:55], v[115:116]
	v_add_f64 v[57:58], v[117:118], v[57:58]
	v_add_f64 v[63:64], v[102:103], v[63:64]
	v_mul_f64 v[102:103], v[39:40], s[2:3]
	v_fma_f64 v[117:118], v[31:32], s[2:3], v[100:101]
	v_fma_f64 v[100:101], v[31:32], s[2:3], -v[100:101]
	v_add_f64 v[59:60], v[119:120], v[59:60]
	v_add_f64 v[53:54], v[84:85], v[53:54]
	;; [unrolled: 1-line block ×3, first 2 shown]
	v_mul_f64 v[84:85], v[86:87], s[34:35]
	v_mul_f64 v[111:112], v[39:40], s[30:31]
	v_fma_f64 v[119:120], v[29:30], s[0:1], v[102:103]
	v_fma_f64 v[102:103], v[29:30], s[4:5], v[102:103]
	v_add_f64 v[45:46], v[100:101], v[45:46]
	v_add_f64 v[100:101], v[23:24], -v[27:28]
	v_add_f64 v[23:24], v[23:24], v[27:28]
	v_add_f64 v[96:97], v[121:122], v[96:97]
	;; [unrolled: 1-line block ×3, first 2 shown]
	v_fma_f64 v[113:114], v[31:32], s[52:53], -v[113:114]
	v_fma_f64 v[115:116], v[29:30], s[50:51], v[115:116]
	v_fma_f64 v[121:122], v[31:32], s[30:31], v[84:85]
	;; [unrolled: 1-line block ×3, first 2 shown]
	v_add_f64 v[47:48], v[102:103], v[47:48]
	v_mul_f64 v[27:28], v[86:87], s[38:39]
	v_mul_f64 v[39:40], v[39:40], s[40:41]
	v_fma_f64 v[84:85], v[31:32], s[30:31], -v[84:85]
	v_fma_f64 v[86:87], v[29:30], s[34:35], v[111:112]
	v_add_f64 v[102:103], v[21:22], v[25:26]
	v_add_f64 v[21:22], v[21:22], -v[25:26]
	v_mul_f64 v[25:26], v[100:101], s[38:39]
	v_mul_f64 v[111:112], v[23:24], s[40:41]
	v_add_f64 v[33:34], v[113:114], v[33:34]
	v_add_f64 v[35:36], v[115:116], v[35:36]
	v_fma_f64 v[113:114], v[31:32], s[40:41], v[27:28]
	v_fma_f64 v[115:116], v[29:30], s[42:43], v[39:40]
	v_fma_f64 v[27:28], v[31:32], s[40:41], -v[27:28]
	v_fma_f64 v[29:30], v[29:30], s[38:39], v[39:40]
	v_add_f64 v[31:32], v[84:85], v[104:105]
	v_add_f64 v[39:40], v[86:87], v[106:107]
	v_fma_f64 v[84:85], v[102:103], s[40:41], v[25:26]
	v_fma_f64 v[86:87], v[21:22], s[42:43], v[111:112]
	v_fma_f64 v[25:26], v[102:103], s[40:41], -v[25:26]
	v_mul_f64 v[104:105], v[23:24], s[30:31]
	v_add_f64 v[27:28], v[27:28], v[92:93]
	v_add_f64 v[29:30], v[29:30], v[94:95]
	v_mul_f64 v[92:93], v[100:101], s[12:13]
	v_mul_f64 v[94:95], v[23:24], s[10:11]
	v_add_f64 v[84:85], v[84:85], v[88:89]
	v_add_f64 v[86:87], v[86:87], v[90:91]
	v_fma_f64 v[88:89], v[21:22], s[38:39], v[111:112]
	v_mul_f64 v[90:91], v[100:101], s[34:35]
	v_add_f64 v[25:26], v[25:26], v[37:38]
	v_add_f64 v[96:97], v[113:114], v[96:97]
	v_fma_f64 v[106:107], v[102:103], s[10:11], v[92:93]
	v_fma_f64 v[111:112], v[21:22], s[6:7], v[94:95]
	v_fma_f64 v[92:93], v[102:103], s[10:11], -v[92:93]
	v_fma_f64 v[94:95], v[21:22], s[12:13], v[94:95]
	v_add_f64 v[37:38], v[88:89], v[82:83]
	v_fma_f64 v[82:83], v[102:103], s[30:31], v[90:91]
	v_fma_f64 v[88:89], v[21:22], s[36:37], v[104:105]
	v_add_f64 v[98:99], v[115:116], v[98:99]
	v_add_f64 v[106:107], v[106:107], v[74:75]
	v_mul_f64 v[74:75], v[100:101], s[44:45]
	v_add_f64 v[92:93], v[92:93], v[78:79]
	v_add_f64 v[94:95], v[94:95], v[80:81]
	v_mul_f64 v[78:79], v[100:101], s[4:5]
	v_add_f64 v[82:83], v[82:83], v[70:71]
	v_add_f64 v[88:89], v[88:89], v[72:73]
	v_fma_f64 v[70:71], v[102:103], s[30:31], -v[90:91]
	v_fma_f64 v[72:73], v[21:22], s[34:35], v[104:105]
	v_mul_f64 v[80:81], v[23:24], s[2:3]
	v_add_f64 v[111:112], v[111:112], v[76:77]
	v_mul_f64 v[76:77], v[23:24], s[46:47]
	v_fma_f64 v[90:91], v[102:103], s[46:47], v[74:75]
	v_add_f64 v[49:50], v[121:122], v[49:50]
	v_add_f64 v[51:52], v[123:124], v[51:52]
	;; [unrolled: 1-line block ×4, first 2 shown]
	v_fma_f64 v[66:67], v[102:103], s[2:3], v[78:79]
	v_fma_f64 v[68:69], v[21:22], s[0:1], v[80:81]
	;; [unrolled: 1-line block ×4, first 2 shown]
	v_add_f64 v[90:91], v[90:91], v[57:58]
	v_mul_f64 v[57:58], v[100:101], s[28:29]
	v_add_f64 v[41:42], v[117:118], v[41:42]
	v_add_f64 v[43:44], v[119:120], v[43:44]
	;; [unrolled: 1-line block ×4, first 2 shown]
	v_mul_f64 v[53:54], v[100:101], s[50:51]
	v_mul_f64 v[55:56], v[23:24], s[52:53]
	v_fma_f64 v[74:75], v[102:103], s[46:47], -v[74:75]
	v_add_f64 v[104:105], v[104:105], v[59:60]
	v_add_f64 v[119:120], v[76:77], v[63:64]
	v_mul_f64 v[59:60], v[23:24], s[24:25]
	v_fma_f64 v[63:64], v[21:22], s[4:5], v[80:81]
	v_fma_f64 v[66:67], v[102:103], s[24:25], v[57:58]
	;; [unrolled: 1-line block ×4, first 2 shown]
	v_add_f64 v[141:142], v[15:16], -v[19:20]
	v_add_f64 v[143:144], v[15:16], v[19:20]
	v_mul_f64 v[15:16], v[100:101], s[8:9]
	v_mul_f64 v[19:20], v[23:24], s[14:15]
	v_add_f64 v[117:118], v[74:75], v[61:62]
	v_fma_f64 v[61:62], v[102:103], s[2:3], -v[78:79]
	v_fma_f64 v[68:69], v[21:22], s[26:27], v[59:60]
	v_fma_f64 v[57:58], v[102:103], s[24:25], -v[57:58]
	v_fma_f64 v[59:60], v[21:22], s[28:29], v[59:60]
	v_add_f64 v[127:128], v[63:64], v[35:36]
	v_add_f64 v[129:130], v[66:67], v[41:42]
	;; [unrolled: 1-line block ×4, first 2 shown]
	v_fma_f64 v[23:24], v[102:103], s[52:53], -v[53:54]
	v_add_f64 v[70:71], v[13:14], v[17:18]
	v_add_f64 v[72:73], v[13:14], -v[17:18]
	v_mul_f64 v[13:14], v[141:142], s[44:45]
	v_mul_f64 v[17:18], v[143:144], s[46:47]
	v_fma_f64 v[35:36], v[102:103], s[14:15], v[15:16]
	v_fma_f64 v[41:42], v[21:22], s[22:23], v[19:20]
	v_fma_f64 v[15:16], v[102:103], s[14:15], -v[15:16]
	v_fma_f64 v[19:20], v[21:22], s[8:9], v[19:20]
	v_add_f64 v[125:126], v[61:62], v[33:34]
	v_add_f64 v[133:134], v[57:58], v[45:46]
	v_add_f64 v[135:136], v[59:60], v[47:48]
	v_fma_f64 v[33:34], v[21:22], s[50:51], v[55:56]
	v_add_f64 v[74:75], v[23:24], v[31:32]
	v_fma_f64 v[21:22], v[70:71], s[46:47], v[13:14]
	v_fma_f64 v[23:24], v[72:73], s[48:49], v[17:18]
	v_add_f64 v[57:58], v[15:16], v[27:28]
	v_add_f64 v[59:60], v[19:20], v[29:30]
	v_mul_f64 v[15:16], v[141:142], s[8:9]
	v_mul_f64 v[19:20], v[143:144], s[14:15]
	v_fma_f64 v[13:14], v[70:71], s[46:47], -v[13:14]
	v_add_f64 v[76:77], v[33:34], v[39:40]
	v_add_f64 v[61:62], v[21:22], v[84:85]
	;; [unrolled: 1-line block ×3, first 2 shown]
	v_mul_f64 v[21:22], v[141:142], s[0:1]
	v_mul_f64 v[23:24], v[143:144], s[2:3]
	v_fma_f64 v[27:28], v[70:71], s[14:15], v[15:16]
	v_fma_f64 v[29:30], v[72:73], s[22:23], v[19:20]
	v_fma_f64 v[31:32], v[70:71], s[14:15], -v[15:16]
	v_add_f64 v[66:67], v[13:14], v[25:26]
	v_add_f64 v[78:79], v[35:36], v[96:97]
	v_fma_f64 v[17:18], v[72:73], s[44:45], v[17:18]
	v_fma_f64 v[25:26], v[70:71], s[2:3], v[21:22]
	;; [unrolled: 1-line block ×3, first 2 shown]
	v_add_f64 v[13:14], v[27:28], v[106:107]
	v_add_f64 v[15:16], v[29:30], v[111:112]
	v_mul_f64 v[27:28], v[141:142], s[42:43]
	v_mul_f64 v[29:30], v[143:144], s[40:41]
	v_fma_f64 v[21:22], v[70:71], s[2:3], -v[21:22]
	v_add_f64 v[131:132], v[68:69], v[43:44]
	v_add_f64 v[53:54], v[25:26], v[82:83]
	;; [unrolled: 1-line block ×3, first 2 shown]
	v_mul_f64 v[25:26], v[141:142], s[34:35]
	v_add_f64 v[68:69], v[17:18], v[37:38]
	v_fma_f64 v[33:34], v[70:71], s[40:41], v[27:28]
	v_fma_f64 v[35:36], v[72:73], s[38:39], v[29:30]
	v_fma_f64 v[27:28], v[70:71], s[40:41], -v[27:28]
	v_fma_f64 v[29:30], v[72:73], s[42:43], v[29:30]
	v_add_f64 v[17:18], v[31:32], v[92:93]
	v_fma_f64 v[23:24], v[72:73], s[0:1], v[23:24]
	v_mul_f64 v[31:32], v[143:144], s[30:31]
	v_add_f64 v[45:46], v[21:22], v[113:114]
	v_fma_f64 v[21:22], v[70:71], s[30:31], v[25:26]
	v_add_f64 v[49:50], v[33:34], v[90:91]
	v_add_f64 v[51:52], v[35:36], v[104:105]
	;; [unrolled: 1-line block ×4, first 2 shown]
	v_mul_f64 v[27:28], v[141:142], s[50:51]
	v_mul_f64 v[29:30], v[143:144], s[52:53]
	v_add_f64 v[47:48], v[23:24], v[115:116]
	v_fma_f64 v[23:24], v[72:73], s[36:37], v[31:32]
	v_add_f64 v[37:38], v[21:22], v[121:122]
	v_fma_f64 v[21:22], v[70:71], s[30:31], -v[25:26]
	v_fma_f64 v[19:20], v[72:73], s[8:9], v[19:20]
	v_mul_f64 v[82:83], v[141:142], s[26:27]
	v_fma_f64 v[25:26], v[70:71], s[52:53], v[27:28]
	v_fma_f64 v[27:28], v[70:71], s[52:53], -v[27:28]
	v_fma_f64 v[84:85], v[72:73], s[50:51], v[29:30]
	v_add_f64 v[39:40], v[23:24], v[123:124]
	v_fma_f64 v[23:24], v[72:73], s[34:35], v[31:32]
	v_mul_f64 v[86:87], v[143:144], s[24:25]
	v_fma_f64 v[31:32], v[72:73], s[54:55], v[29:30]
	v_add_f64 v[92:93], v[7:8], -v[11:12]
	v_add_f64 v[29:30], v[25:26], v[129:130]
	v_add_f64 v[25:26], v[27:28], v[133:134]
	;; [unrolled: 1-line block ×3, first 2 shown]
	v_mul_f64 v[84:85], v[141:142], s[6:7]
	v_add_f64 v[80:81], v[41:42], v[98:99]
	v_add_f64 v[19:20], v[19:20], v[94:95]
	v_add_f64 v[41:42], v[21:22], v[125:126]
	v_add_f64 v[43:44], v[23:24], v[127:128]
	v_fma_f64 v[21:22], v[70:71], s[24:25], v[82:83]
	v_fma_f64 v[23:24], v[72:73], s[28:29], v[86:87]
	v_mul_f64 v[88:89], v[143:144], s[10:11]
	v_add_f64 v[90:91], v[7:8], v[11:12]
	v_fma_f64 v[7:8], v[70:71], s[24:25], -v[82:83]
	v_fma_f64 v[11:12], v[72:73], s[26:27], v[86:87]
	v_fma_f64 v[94:95], v[70:71], s[10:11], v[84:85]
	v_add_f64 v[86:87], v[5:6], v[9:10]
	v_add_f64 v[82:83], v[5:6], -v[9:10]
	v_mul_f64 v[5:6], v[92:93], s[50:51]
	v_fma_f64 v[96:97], v[72:73], s[12:13], v[88:89]
	v_mul_f64 v[9:10], v[90:91], s[52:53]
	v_add_f64 v[74:75], v[7:8], v[74:75]
	v_add_f64 v[76:77], v[11:12], v[76:77]
	;; [unrolled: 1-line block ×3, first 2 shown]
	v_fma_f64 v[11:12], v[72:73], s[6:7], v[88:89]
	v_mul_f64 v[94:95], v[90:91], s[30:31]
	v_fma_f64 v[72:73], v[86:87], s[52:53], v[5:6]
	v_fma_f64 v[7:8], v[70:71], s[10:11], -v[84:85]
	v_mul_f64 v[88:89], v[92:93], s[36:37]
	v_add_f64 v[80:81], v[96:97], v[80:81]
	v_fma_f64 v[84:85], v[82:83], s[54:55], v[9:10]
	v_fma_f64 v[5:6], v[86:87], s[52:53], -v[5:6]
	v_fma_f64 v[96:97], v[82:83], s[50:51], v[9:10]
	v_add_f64 v[31:32], v[31:32], v[131:132]
	v_add_f64 v[9:10], v[72:73], v[61:62]
	v_fma_f64 v[61:62], v[82:83], s[34:35], v[94:95]
	v_add_f64 v[70:71], v[7:8], v[57:58]
	v_add_f64 v[57:58], v[11:12], v[59:60]
	;; [unrolled: 3-line block ×3, first 2 shown]
	v_mul_f64 v[63:64], v[92:93], s[44:45]
	v_mul_f64 v[66:67], v[90:91], s[46:47]
	v_fma_f64 v[72:73], v[82:83], s[36:37], v[94:95]
	v_add_f64 v[15:16], v[61:62], v[15:16]
	v_mul_f64 v[61:62], v[90:91], s[24:25]
	v_add_f64 v[7:8], v[96:97], v[68:69]
	v_fma_f64 v[68:69], v[86:87], s[30:31], -v[88:89]
	v_add_f64 v[13:14], v[59:60], v[13:14]
	v_mul_f64 v[59:60], v[92:93], s[26:27]
	v_fma_f64 v[84:85], v[86:87], s[46:47], v[63:64]
	v_fma_f64 v[88:89], v[82:83], s[48:49], v[66:67]
	v_add_f64 v[19:20], v[72:73], v[19:20]
	v_fma_f64 v[72:73], v[82:83], s[28:29], v[61:62]
	v_fma_f64 v[63:64], v[86:87], s[46:47], -v[63:64]
	v_add_f64 v[17:18], v[68:69], v[17:18]
	v_fma_f64 v[66:67], v[82:83], s[44:45], v[66:67]
	v_fma_f64 v[68:69], v[86:87], s[24:25], v[59:60]
	v_add_f64 v[53:54], v[84:85], v[53:54]
	v_add_f64 v[55:56], v[88:89], v[55:56]
	v_mul_f64 v[84:85], v[92:93], s[38:39]
	v_mul_f64 v[88:89], v[90:91], s[40:41]
	v_add_f64 v[51:52], v[72:73], v[51:52]
	v_fma_f64 v[61:62], v[82:83], s[26:27], v[61:62]
	v_mul_f64 v[72:73], v[90:91], s[14:15]
	v_add_f64 v[49:50], v[68:69], v[49:50]
	v_fma_f64 v[59:60], v[86:87], s[24:25], -v[59:60]
	v_mul_f64 v[68:69], v[92:93], s[8:9]
	v_add_f64 v[45:46], v[63:64], v[45:46]
	v_add_f64 v[47:48], v[66:67], v[47:48]
	v_fma_f64 v[63:64], v[86:87], s[40:41], v[84:85]
	v_fma_f64 v[66:67], v[82:83], s[42:43], v[88:89]
	v_add_f64 v[35:36], v[61:62], v[35:36]
	v_fma_f64 v[61:62], v[82:83], s[22:23], v[72:73]
	v_add_f64 v[33:34], v[59:60], v[33:34]
	v_fma_f64 v[59:60], v[86:87], s[14:15], v[68:69]
	v_fma_f64 v[88:89], v[82:83], s[38:39], v[88:89]
	v_fma_f64 v[84:85], v[86:87], s[40:41], -v[84:85]
	v_add_f64 v[37:38], v[63:64], v[37:38]
	v_add_f64 v[39:40], v[66:67], v[39:40]
	v_fma_f64 v[63:64], v[86:87], s[14:15], -v[68:69]
	v_fma_f64 v[66:67], v[82:83], s[8:9], v[72:73]
	v_mul_f64 v[68:69], v[92:93], s[6:7]
	v_mul_f64 v[72:73], v[90:91], s[10:11]
	v_add_f64 v[31:32], v[61:62], v[31:32]
	v_mul_f64 v[61:62], v[90:91], s[2:3]
	v_add_f64 v[29:30], v[59:60], v[29:30]
	;; [unrolled: 2-line block ×3, first 2 shown]
	v_add_f64 v[25:26], v[63:64], v[25:26]
	v_add_f64 v[27:28], v[66:67], v[27:28]
	v_fma_f64 v[63:64], v[86:87], s[10:11], v[68:69]
	v_fma_f64 v[66:67], v[82:83], s[12:13], v[72:73]
	v_fma_f64 v[68:69], v[86:87], s[10:11], -v[68:69]
	v_fma_f64 v[72:73], v[82:83], s[6:7], v[72:73]
	v_fma_f64 v[88:89], v[82:83], s[0:1], v[61:62]
	;; [unrolled: 1-line block ×3, first 2 shown]
	v_add_f64 v[21:22], v[21:22], v[137:138]
	v_add_f64 v[23:24], v[23:24], v[139:140]
	;; [unrolled: 1-line block ×3, first 2 shown]
	v_fma_f64 v[84:85], v[86:87], s[2:3], v[59:60]
	v_fma_f64 v[86:87], v[86:87], s[2:3], -v[59:60]
	v_add_f64 v[59:60], v[68:69], v[74:75]
	v_add_f64 v[61:62], v[72:73], v[76:77]
	;; [unrolled: 1-line block ×3, first 2 shown]
	v_mul_u32_u24_e32 v57, 0x770, v108
	v_lshlrev_b32_e32 v74, 4, v110
	v_add_f64 v[21:22], v[63:64], v[21:22]
	v_add_f64 v[23:24], v[66:67], v[23:24]
	v_add3_u32 v57, 0, v57, v74
	v_add_f64 v[66:67], v[84:85], v[78:79]
	v_add_f64 v[68:69], v[88:89], v[80:81]
	v_add_f64 v[70:71], v[86:87], v[70:71]
	ds_write_b128 v57, v[1:4]
	ds_write_b128 v57, v[9:12] offset:112
	ds_write_b128 v57, v[13:16] offset:224
	;; [unrolled: 1-line block ×16, first 2 shown]
	v_mul_hi_u32 v1, v108, s33
	s_waitcnt lgkmcnt(0)
	s_barrier
	v_mul_u32_u24_e32 v1, 17, v1
	v_sub_u32_e32 v110, v108, v1
	v_lshlrev_b32_e32 v94, 8, v110
	global_load_dwordx4 v[5:8], v94, s[56:57]
	global_load_dwordx4 v[9:12], v94, s[56:57] offset:16
	global_load_dwordx4 v[13:16], v94, s[56:57] offset:32
	;; [unrolled: 1-line block ×9, first 2 shown]
	v_mul_u32_u24_e32 v1, 0x70, v108
	v_add3_u32 v95, 0, v1, v74
	ds_read_b128 v[31:34], v95 offset:1904
	ds_read_b128 v[41:44], v95 offset:3808
	global_load_dwordx4 v[66:69], v94, s[56:57] offset:160
	global_load_dwordx4 v[70:73], v94, s[56:57] offset:176
	ds_read_b128 v[53:56], v95 offset:5712
	ds_read_b128 v[1:4], v95
	ds_read_b128 v[74:77], v95 offset:7616
	ds_read_b128 v[78:81], v95 offset:9520
	s_waitcnt vmcnt(11) lgkmcnt(5)
	v_mul_f64 v[25:26], v[33:34], v[7:8]
	v_mul_f64 v[7:8], v[31:32], v[7:8]
	s_waitcnt vmcnt(10) lgkmcnt(4)
	v_mul_f64 v[35:36], v[43:44], v[11:12]
	v_mul_f64 v[11:12], v[41:42], v[11:12]
	v_fma_f64 v[90:91], v[31:32], v[5:6], v[25:26]
	v_fma_f64 v[92:93], v[33:34], v[5:6], -v[7:8]
	v_fma_f64 v[49:50], v[41:42], v[9:10], v[35:36]
	v_fma_f64 v[51:52], v[43:44], v[9:10], -v[11:12]
	global_load_dwordx4 v[5:8], v94, s[56:57] offset:208
	global_load_dwordx4 v[82:85], v94, s[56:57] offset:192
	s_waitcnt vmcnt(11) lgkmcnt(3)
	v_mul_f64 v[9:10], v[55:56], v[15:16]
	v_mul_f64 v[11:12], v[53:54], v[15:16]
	s_waitcnt vmcnt(10) lgkmcnt(1)
	v_mul_f64 v[31:32], v[76:77], v[19:20]
	v_add_f64 v[15:16], v[1:2], v[90:91]
	v_add_f64 v[25:26], v[3:4], v[92:93]
	v_mul_f64 v[19:20], v[74:75], v[19:20]
	global_load_dwordx4 v[86:89], v94, s[56:57] offset:240
	v_fma_f64 v[53:54], v[53:54], v[13:14], v[9:10]
	v_fma_f64 v[55:56], v[55:56], v[13:14], -v[11:12]
	v_fma_f64 v[41:42], v[74:75], v[17:18], v[31:32]
	v_add_f64 v[13:14], v[15:16], v[49:50]
	v_add_f64 v[15:16], v[25:26], v[51:52]
	v_fma_f64 v[43:44], v[76:77], v[17:18], -v[19:20]
	global_load_dwordx4 v[74:77], v94, s[56:57] offset:224
	s_waitcnt vmcnt(11) lgkmcnt(0)
	v_mul_f64 v[17:18], v[80:81], v[23:24]
	v_mul_f64 v[19:20], v[78:79], v[23:24]
	ds_read_b128 v[9:12], v95 offset:11424
	v_add_f64 v[23:24], v[13:14], v[53:54]
	v_add_f64 v[25:26], v[15:16], v[55:56]
	ds_read_b128 v[13:16], v95 offset:13328
	s_waitcnt vmcnt(10) lgkmcnt(1)
	v_mul_f64 v[31:32], v[11:12], v[29:30]
	v_mul_f64 v[29:30], v[9:10], v[29:30]
	v_fma_f64 v[33:34], v[78:79], v[21:22], v[17:18]
	v_fma_f64 v[35:36], v[80:81], v[21:22], -v[19:20]
	v_add_f64 v[17:18], v[23:24], v[41:42]
	v_add_f64 v[19:20], v[25:26], v[43:44]
	ds_read_b128 v[21:24], v95 offset:17136
	v_fma_f64 v[25:26], v[9:10], v[27:28], v[31:32]
	v_fma_f64 v[27:28], v[11:12], v[27:28], -v[29:30]
	s_waitcnt vmcnt(9) lgkmcnt(1)
	v_mul_f64 v[29:30], v[15:16], v[39:40]
	v_mul_f64 v[31:32], v[13:14], v[39:40]
	ds_read_b128 v[9:12], v95 offset:15232
	v_add_f64 v[39:40], v[17:18], v[33:34]
	v_add_f64 v[78:79], v[19:20], v[35:36]
	s_waitcnt vmcnt(8) lgkmcnt(0)
	v_mul_f64 v[80:81], v[11:12], v[47:48]
	v_mul_f64 v[47:48], v[9:10], v[47:48]
	v_fma_f64 v[17:18], v[13:14], v[37:38], v[29:30]
	v_fma_f64 v[19:20], v[15:16], v[37:38], -v[31:32]
	v_add_f64 v[13:14], v[39:40], v[25:26]
	v_add_f64 v[15:16], v[78:79], v[27:28]
	ds_read_b128 v[29:32], v95 offset:19040
	ds_read_b128 v[37:40], v95 offset:20944
	v_fma_f64 v[9:10], v[9:10], v[45:46], v[80:81]
	v_fma_f64 v[11:12], v[11:12], v[45:46], -v[47:48]
	s_waitcnt vmcnt(7)
	v_mul_f64 v[45:46], v[23:24], v[59:60]
	v_mul_f64 v[47:48], v[21:22], v[59:60]
	v_add_f64 v[59:60], v[13:14], v[17:18]
	v_add_f64 v[78:79], v[15:16], v[19:20]
	s_waitcnt vmcnt(6) lgkmcnt(1)
	v_mul_f64 v[80:81], v[31:32], v[63:64]
	v_mul_f64 v[63:64], v[29:30], v[63:64]
	v_fma_f64 v[13:14], v[21:22], v[57:58], v[45:46]
	v_fma_f64 v[15:16], v[23:24], v[57:58], -v[47:48]
	v_add_f64 v[57:58], v[59:60], v[9:10]
	v_add_f64 v[59:60], v[78:79], v[11:12]
	v_fma_f64 v[21:22], v[29:30], v[61:62], v[80:81]
	v_fma_f64 v[23:24], v[31:32], v[61:62], -v[63:64]
	s_waitcnt vmcnt(5) lgkmcnt(0)
	v_mul_f64 v[29:30], v[39:40], v[68:69]
	v_mul_f64 v[31:32], v[37:38], v[68:69]
	ds_read_b128 v[45:48], v95 offset:22848
	v_add_f64 v[61:62], v[57:58], v[13:14]
	v_add_f64 v[63:64], v[59:60], v[15:16]
	ds_read_b128 v[57:60], v95 offset:24752
	s_waitcnt vmcnt(4) lgkmcnt(1)
	v_mul_f64 v[68:69], v[47:48], v[72:73]
	v_mul_f64 v[72:73], v[45:46], v[72:73]
	v_fma_f64 v[29:30], v[37:38], v[66:67], v[29:30]
	v_fma_f64 v[31:32], v[39:40], v[66:67], -v[31:32]
	v_add_f64 v[78:79], v[61:62], v[21:22]
	v_add_f64 v[80:81], v[63:64], v[23:24]
	ds_read_b128 v[61:64], v95 offset:30464
	v_fma_f64 v[37:38], v[45:46], v[70:71], v[68:69]
	v_fma_f64 v[39:40], v[47:48], v[70:71], -v[72:73]
	s_waitcnt vmcnt(2) lgkmcnt(1)
	v_mul_f64 v[45:46], v[59:60], v[84:85]
	v_mul_f64 v[47:48], v[57:58], v[84:85]
	ds_read_b128 v[66:69], v95 offset:26656
	ds_read_b128 v[70:73], v95 offset:28560
	v_add_f64 v[78:79], v[78:79], v[29:30]
	v_add_f64 v[80:81], v[80:81], v[31:32]
	s_waitcnt vmcnt(1) lgkmcnt(2)
	v_mul_f64 v[94:95], v[61:62], v[88:89]
	s_waitcnt lgkmcnt(1)
	v_mul_f64 v[84:85], v[68:69], v[7:8]
	v_mul_f64 v[7:8], v[66:67], v[7:8]
	v_fma_f64 v[45:46], v[57:58], v[82:83], v[45:46]
	v_fma_f64 v[47:48], v[59:60], v[82:83], -v[47:48]
	v_mul_f64 v[82:83], v[63:64], v[88:89]
	v_add_f64 v[78:79], v[78:79], v[37:38]
	v_add_f64 v[80:81], v[80:81], v[39:40]
	v_fma_f64 v[63:64], v[63:64], v[86:87], -v[94:95]
	v_fma_f64 v[57:58], v[66:67], v[5:6], v[84:85]
	v_fma_f64 v[59:60], v[68:69], v[5:6], -v[7:8]
	s_waitcnt vmcnt(0) lgkmcnt(0)
	v_mul_f64 v[5:6], v[72:73], v[76:77]
	v_mul_f64 v[7:8], v[70:71], v[76:77]
	v_fma_f64 v[61:62], v[61:62], v[86:87], v[82:83]
	v_add_f64 v[66:67], v[78:79], v[45:46]
	v_add_f64 v[68:69], v[80:81], v[47:48]
	v_add_f64 v[76:77], v[92:93], -v[63:64]
	v_add_f64 v[78:79], v[92:93], v[63:64]
	v_fma_f64 v[70:71], v[70:71], v[74:75], v[5:6]
	v_fma_f64 v[72:73], v[72:73], v[74:75], -v[7:8]
	v_add_f64 v[5:6], v[66:67], v[57:58]
	v_add_f64 v[7:8], v[68:69], v[59:60]
	;; [unrolled: 1-line block ×3, first 2 shown]
	v_add_f64 v[68:69], v[90:91], -v[61:62]
	v_mul_f64 v[74:75], v[76:77], s[34:35]
	v_mul_f64 v[80:81], v[78:79], s[30:31]
	;; [unrolled: 1-line block ×4, first 2 shown]
	v_add_f64 v[5:6], v[5:6], v[70:71]
	v_add_f64 v[7:8], v[7:8], v[72:73]
	v_mul_f64 v[98:99], v[76:77], s[0:1]
	v_mul_f64 v[100:101], v[78:79], s[2:3]
	;; [unrolled: 1-line block ×6, first 2 shown]
	v_add_f64 v[5:6], v[5:6], v[61:62]
	v_add_f64 v[7:8], v[7:8], v[63:64]
	v_mul_f64 v[61:62], v[76:77], s[28:29]
	v_mul_f64 v[63:64], v[78:79], s[24:25]
	;; [unrolled: 1-line block ×4, first 2 shown]
	v_add_f64 v[133:134], v[51:52], -v[72:73]
	v_add_f64 v[51:52], v[51:52], v[72:73]
	v_mul_f64 v[72:73], v[76:77], s[50:51]
	v_mul_f64 v[76:77], v[78:79], s[52:53]
	v_fma_f64 v[82:83], v[66:67], s[30:31], v[74:75]
	v_fma_f64 v[84:85], v[68:69], s[36:37], v[80:81]
	v_fma_f64 v[74:75], v[66:67], s[30:31], -v[74:75]
	v_fma_f64 v[80:81], v[68:69], s[34:35], v[80:81]
	v_fma_f64 v[90:91], v[66:67], s[24:25], v[61:62]
	v_fma_f64 v[92:93], v[68:69], s[26:27], v[63:64]
	v_fma_f64 v[61:62], v[66:67], s[24:25], -v[61:62]
	v_fma_f64 v[63:64], v[68:69], s[28:29], v[63:64]
	;; [unrolled: 4-line block ×7, first 2 shown]
	v_add_f64 v[123:124], v[49:50], v[70:71]
	v_add_f64 v[49:50], v[49:50], -v[70:71]
	v_mul_f64 v[70:71], v[133:134], s[28:29]
	v_mul_f64 v[135:136], v[51:52], s[24:25]
	v_fma_f64 v[137:138], v[66:67], s[52:53], v[72:73]
	v_fma_f64 v[139:140], v[68:69], s[54:55], v[76:77]
	v_fma_f64 v[66:67], v[66:67], s[52:53], -v[72:73]
	v_fma_f64 v[68:69], v[68:69], s[50:51], v[76:77]
	v_add_f64 v[82:83], v[1:2], v[82:83]
	v_add_f64 v[84:85], v[3:4], v[84:85]
	;; [unrolled: 1-line block ×28, first 2 shown]
	v_fma_f64 v[78:79], v[123:124], s[24:25], v[70:71]
	v_fma_f64 v[121:122], v[49:50], s[26:27], v[135:136]
	v_add_f64 v[137:138], v[1:2], v[137:138]
	v_add_f64 v[139:140], v[3:4], v[139:140]
	;; [unrolled: 1-line block ×4, first 2 shown]
	v_mul_f64 v[66:67], v[133:134], s[0:1]
	v_mul_f64 v[68:69], v[51:52], s[2:3]
	v_add_f64 v[78:79], v[78:79], v[82:83]
	v_add_f64 v[82:83], v[121:122], v[84:85]
	v_fma_f64 v[70:71], v[123:124], s[24:25], -v[70:71]
	v_fma_f64 v[84:85], v[49:50], s[28:29], v[135:136]
	v_mul_f64 v[121:122], v[133:134], s[38:39]
	v_mul_f64 v[135:136], v[51:52], s[40:41]
	v_fma_f64 v[141:142], v[123:124], s[2:3], v[66:67]
	v_fma_f64 v[143:144], v[49:50], s[4:5], v[68:69]
	v_fma_f64 v[66:67], v[123:124], s[2:3], -v[66:67]
	v_fma_f64 v[68:69], v[49:50], s[0:1], v[68:69]
	v_add_f64 v[70:71], v[70:71], v[74:75]
	v_add_f64 v[74:75], v[84:85], v[80:81]
	v_fma_f64 v[80:81], v[123:124], s[40:41], v[121:122]
	v_fma_f64 v[84:85], v[49:50], s[42:43], v[135:136]
	v_add_f64 v[90:91], v[141:142], v[90:91]
	v_add_f64 v[92:93], v[143:144], v[92:93]
	;; [unrolled: 1-line block ×4, first 2 shown]
	v_mul_f64 v[66:67], v[133:134], s[50:51]
	v_mul_f64 v[68:69], v[51:52], s[52:53]
	v_add_f64 v[80:81], v[80:81], v[94:95]
	v_add_f64 v[84:85], v[84:85], v[96:97]
	v_fma_f64 v[94:95], v[123:124], s[40:41], -v[121:122]
	v_fma_f64 v[96:97], v[49:50], s[38:39], v[135:136]
	v_mul_f64 v[121:122], v[133:134], s[48:49]
	v_mul_f64 v[135:136], v[51:52], s[46:47]
	v_fma_f64 v[141:142], v[123:124], s[52:53], v[66:67]
	v_fma_f64 v[143:144], v[49:50], s[54:55], v[68:69]
	v_fma_f64 v[66:67], v[123:124], s[52:53], -v[66:67]
	v_fma_f64 v[68:69], v[49:50], s[50:51], v[68:69]
	v_add_f64 v[86:87], v[94:95], v[86:87]
	v_add_f64 v[88:89], v[96:97], v[88:89]
	v_fma_f64 v[94:95], v[123:124], s[46:47], v[121:122]
	v_fma_f64 v[96:97], v[49:50], s[44:45], v[135:136]
	v_add_f64 v[106:107], v[141:142], v[106:107]
	v_add_f64 v[111:112], v[143:144], v[111:112]
	;; [unrolled: 1-line block ×4, first 2 shown]
	v_mul_f64 v[98:99], v[133:134], s[12:13]
	v_mul_f64 v[100:101], v[51:52], s[10:11]
	v_add_f64 v[94:95], v[94:95], v[113:114]
	v_add_f64 v[96:97], v[96:97], v[115:116]
	v_mul_f64 v[113:114], v[133:134], s[8:9]
	v_mul_f64 v[115:116], v[51:52], s[14:15]
	v_fma_f64 v[121:122], v[123:124], s[46:47], -v[121:122]
	v_fma_f64 v[135:136], v[49:50], s[48:49], v[135:136]
	v_fma_f64 v[141:142], v[123:124], s[10:11], v[98:99]
	;; [unrolled: 1-line block ×3, first 2 shown]
	v_fma_f64 v[98:99], v[123:124], s[10:11], -v[98:99]
	v_fma_f64 v[100:101], v[49:50], s[12:13], v[100:101]
	v_fma_f64 v[145:146], v[123:124], s[14:15], v[113:114]
	;; [unrolled: 1-line block ×3, first 2 shown]
	v_add_f64 v[102:103], v[121:122], v[102:103]
	v_mul_f64 v[51:52], v[51:52], s[30:31]
	v_add_f64 v[121:122], v[141:142], v[125:126]
	v_add_f64 v[125:126], v[143:144], v[127:128]
	v_add_f64 v[127:128], v[55:56], -v[59:60]
	v_add_f64 v[55:56], v[55:56], v[59:60]
	v_add_f64 v[98:99], v[98:99], v[117:118]
	;; [unrolled: 1-line block ×5, first 2 shown]
	v_fma_f64 v[113:114], v[123:124], s[14:15], -v[113:114]
	v_fma_f64 v[115:116], v[49:50], s[8:9], v[115:116]
	v_add_f64 v[129:130], v[53:54], v[57:58]
	v_add_f64 v[53:54], v[53:54], -v[57:58]
	v_mul_f64 v[57:58], v[127:128], s[22:23]
	v_mul_f64 v[131:132], v[55:56], s[14:15]
	v_add_f64 v[104:105], v[135:136], v[104:105]
	v_mul_f64 v[59:60], v[133:134], s[36:37]
	v_fma_f64 v[135:136], v[49:50], s[34:35], v[51:52]
	v_fma_f64 v[49:50], v[49:50], s[36:37], v[51:52]
	v_add_f64 v[51:52], v[113:114], v[72:73]
	v_add_f64 v[72:73], v[115:116], v[76:77]
	v_fma_f64 v[76:77], v[129:130], s[14:15], v[57:58]
	v_fma_f64 v[113:114], v[53:54], s[8:9], v[131:132]
	v_fma_f64 v[57:58], v[129:130], s[14:15], -v[57:58]
	v_fma_f64 v[133:134], v[123:124], s[30:31], v[59:60]
	v_fma_f64 v[59:60], v[123:124], s[30:31], -v[59:60]
	v_add_f64 v[3:4], v[49:50], v[3:4]
	v_mul_f64 v[49:50], v[127:128], s[38:39]
	v_add_f64 v[123:124], v[135:136], v[139:140]
	v_add_f64 v[76:77], v[76:77], v[78:79]
	;; [unrolled: 1-line block ×3, first 2 shown]
	v_fma_f64 v[82:83], v[53:54], s[22:23], v[131:132]
	v_mul_f64 v[113:114], v[127:128], s[54:55]
	v_mul_f64 v[131:132], v[55:56], s[52:53]
	v_add_f64 v[115:116], v[133:134], v[137:138]
	v_add_f64 v[1:2], v[59:60], v[1:2]
	v_mul_f64 v[59:60], v[55:56], s[40:41]
	v_fma_f64 v[133:134], v[129:130], s[40:41], v[49:50]
	v_fma_f64 v[49:50], v[129:130], s[40:41], -v[49:50]
	v_add_f64 v[57:58], v[57:58], v[70:71]
	v_add_f64 v[70:71], v[82:83], v[74:75]
	v_fma_f64 v[74:75], v[129:130], s[52:53], v[113:114]
	v_fma_f64 v[82:83], v[53:54], s[50:51], v[131:132]
	;; [unrolled: 1-line block ×4, first 2 shown]
	v_add_f64 v[49:50], v[49:50], v[61:62]
	v_mul_f64 v[61:62], v[127:128], s[12:13]
	v_add_f64 v[90:91], v[133:134], v[90:91]
	v_add_f64 v[74:75], v[74:75], v[80:81]
	v_add_f64 v[80:81], v[82:83], v[84:85]
	v_fma_f64 v[82:83], v[129:130], s[52:53], -v[113:114]
	v_mul_f64 v[113:114], v[127:128], s[26:27]
	v_add_f64 v[59:60], v[59:60], v[63:64]
	v_mul_f64 v[63:64], v[55:56], s[10:11]
	v_fma_f64 v[84:85], v[53:54], s[54:55], v[131:132]
	v_mul_f64 v[131:132], v[55:56], s[24:25]
	v_fma_f64 v[133:134], v[129:130], s[10:11], v[61:62]
	v_fma_f64 v[61:62], v[129:130], s[10:11], -v[61:62]
	v_add_f64 v[82:83], v[82:83], v[86:87]
	v_fma_f64 v[86:87], v[129:130], s[24:25], v[113:114]
	v_add_f64 v[92:93], v[135:136], v[92:93]
	v_fma_f64 v[135:136], v[53:54], s[6:7], v[63:64]
	v_fma_f64 v[63:64], v[53:54], s[12:13], v[63:64]
	v_add_f64 v[84:85], v[84:85], v[88:89]
	v_fma_f64 v[88:89], v[53:54], s[28:29], v[131:132]
	v_add_f64 v[61:62], v[61:62], v[66:67]
	v_mul_f64 v[66:67], v[127:128], s[34:35]
	v_add_f64 v[86:87], v[86:87], v[94:95]
	v_mul_f64 v[94:95], v[127:128], s[0:1]
	v_add_f64 v[106:107], v[133:134], v[106:107]
	v_add_f64 v[63:64], v[63:64], v[68:69]
	v_mul_f64 v[68:69], v[55:56], s[30:31]
	v_add_f64 v[88:89], v[88:89], v[96:97]
	v_mul_f64 v[96:97], v[55:56], s[2:3]
	v_fma_f64 v[133:134], v[129:130], s[30:31], v[66:67]
	v_fma_f64 v[66:67], v[129:130], s[30:31], -v[66:67]
	v_fma_f64 v[137:138], v[129:130], s[2:3], v[94:95]
	v_add_f64 v[111:112], v[135:136], v[111:112]
	v_fma_f64 v[113:114], v[129:130], s[24:25], -v[113:114]
	v_fma_f64 v[135:136], v[53:54], s[36:37], v[68:69]
	v_fma_f64 v[68:69], v[53:54], s[34:35], v[68:69]
	;; [unrolled: 1-line block ×4, first 2 shown]
	v_add_f64 v[66:67], v[66:67], v[98:99]
	v_add_f64 v[98:99], v[137:138], v[117:118]
	v_add_f64 v[117:118], v[43:44], -v[47:48]
	v_add_f64 v[43:44], v[43:44], v[47:48]
	v_add_f64 v[102:103], v[113:114], v[102:103]
	;; [unrolled: 1-line block ×6, first 2 shown]
	v_mul_f64 v[47:48], v[127:128], s[44:45]
	v_mul_f64 v[55:56], v[55:56], s[46:47]
	v_fma_f64 v[94:95], v[129:130], s[2:3], -v[94:95]
	v_fma_f64 v[96:97], v[53:54], s[0:1], v[96:97]
	v_add_f64 v[119:120], v[41:42], v[45:46]
	v_add_f64 v[41:42], v[41:42], -v[45:46]
	v_mul_f64 v[45:46], v[117:118], s[0:1]
	v_mul_f64 v[125:126], v[43:44], s[2:3]
	v_add_f64 v[104:105], v[131:132], v[104:105]
	v_fma_f64 v[127:128], v[129:130], s[46:47], v[47:48]
	v_fma_f64 v[131:132], v[53:54], s[48:49], v[55:56]
	v_fma_f64 v[47:48], v[129:130], s[46:47], -v[47:48]
	v_fma_f64 v[53:54], v[53:54], s[44:45], v[55:56]
	v_add_f64 v[51:52], v[94:95], v[51:52]
	v_add_f64 v[55:56], v[96:97], v[72:73]
	v_fma_f64 v[72:73], v[119:120], s[2:3], v[45:46]
	v_fma_f64 v[94:95], v[41:42], s[4:5], v[125:126]
	v_add_f64 v[96:97], v[127:128], v[115:116]
	v_add_f64 v[115:116], v[131:132], v[123:124]
	;; [unrolled: 1-line block ×4, first 2 shown]
	v_mul_f64 v[47:48], v[117:118], s[50:51]
	v_mul_f64 v[53:54], v[43:44], s[52:53]
	v_add_f64 v[72:73], v[72:73], v[76:77]
	v_add_f64 v[76:77], v[94:95], v[78:79]
	v_fma_f64 v[45:46], v[119:120], s[2:3], -v[45:46]
	v_fma_f64 v[78:79], v[41:42], s[0:1], v[125:126]
	v_mul_f64 v[94:95], v[117:118], s[12:13]
	v_mul_f64 v[123:124], v[43:44], s[10:11]
	v_fma_f64 v[125:126], v[119:120], s[52:53], v[47:48]
	v_fma_f64 v[127:128], v[41:42], s[54:55], v[53:54]
	v_fma_f64 v[47:48], v[119:120], s[52:53], -v[47:48]
	v_fma_f64 v[53:54], v[41:42], s[50:51], v[53:54]
	v_add_f64 v[45:46], v[45:46], v[57:58]
	v_add_f64 v[57:58], v[78:79], v[70:71]
	v_fma_f64 v[70:71], v[119:120], s[10:11], v[94:95]
	v_fma_f64 v[78:79], v[41:42], s[6:7], v[123:124]
	v_add_f64 v[90:91], v[125:126], v[90:91]
	v_add_f64 v[92:93], v[127:128], v[92:93]
	;; [unrolled: 1-line block ×4, first 2 shown]
	v_mul_f64 v[53:54], v[117:118], s[36:37]
	v_mul_f64 v[59:60], v[43:44], s[30:31]
	v_add_f64 v[70:71], v[70:71], v[74:75]
	v_add_f64 v[74:75], v[78:79], v[80:81]
	v_fma_f64 v[78:79], v[119:120], s[10:11], -v[94:95]
	v_mul_f64 v[94:95], v[117:118], s[22:23]
	v_fma_f64 v[80:81], v[41:42], s[12:13], v[123:124]
	v_mul_f64 v[123:124], v[43:44], s[14:15]
	v_fma_f64 v[125:126], v[119:120], s[30:31], v[53:54]
	v_fma_f64 v[53:54], v[119:120], s[30:31], -v[53:54]
	v_fma_f64 v[127:128], v[41:42], s[34:35], v[59:60]
	v_fma_f64 v[59:60], v[41:42], s[36:37], v[59:60]
	v_add_f64 v[78:79], v[78:79], v[82:83]
	v_fma_f64 v[82:83], v[119:120], s[14:15], v[94:95]
	v_add_f64 v[80:81], v[80:81], v[84:85]
	;; [unrolled: 2-line block ×3, first 2 shown]
	v_add_f64 v[53:54], v[53:54], v[61:62]
	v_mul_f64 v[61:62], v[117:118], s[44:45]
	v_add_f64 v[59:60], v[59:60], v[63:64]
	v_mul_f64 v[63:64], v[43:44], s[46:47]
	v_add_f64 v[82:83], v[82:83], v[86:87]
	v_mul_f64 v[86:87], v[117:118], s[42:43]
	v_add_f64 v[84:85], v[84:85], v[88:89]
	v_mul_f64 v[88:89], v[43:44], s[40:41]
	v_add_f64 v[111:112], v[127:128], v[111:112]
	v_fma_f64 v[125:126], v[119:120], s[46:47], v[61:62]
	v_fma_f64 v[61:62], v[119:120], s[46:47], -v[61:62]
	v_fma_f64 v[127:128], v[41:42], s[48:49], v[63:64]
	v_fma_f64 v[63:64], v[41:42], s[44:45], v[63:64]
	;; [unrolled: 1-line block ×3, first 2 shown]
	v_fma_f64 v[94:95], v[119:120], s[14:15], -v[94:95]
	v_fma_f64 v[131:132], v[41:42], s[38:39], v[88:89]
	v_fma_f64 v[123:124], v[41:42], s[22:23], v[123:124]
	v_mul_f64 v[43:44], v[43:44], s[24:25]
	v_add_f64 v[61:62], v[61:62], v[66:67]
	v_fma_f64 v[86:87], v[119:120], s[40:41], -v[86:87]
	v_add_f64 v[63:64], v[63:64], v[68:69]
	v_add_f64 v[66:67], v[129:130], v[98:99]
	v_add_f64 v[98:99], v[35:36], -v[39:40]
	v_add_f64 v[35:36], v[35:36], v[39:40]
	v_add_f64 v[68:69], v[131:132], v[100:101]
	v_mul_f64 v[39:40], v[117:118], s[26:27]
	v_fma_f64 v[88:89], v[41:42], s[42:43], v[88:89]
	v_add_f64 v[100:101], v[33:34], v[37:38]
	v_add_f64 v[33:34], v[33:34], -v[37:38]
	v_add_f64 v[94:95], v[94:95], v[102:103]
	v_mul_f64 v[37:38], v[98:99], s[6:7]
	v_mul_f64 v[117:118], v[35:36], s[10:11]
	v_add_f64 v[102:103], v[123:124], v[104:105]
	v_add_f64 v[104:105], v[125:126], v[113:114]
	;; [unrolled: 1-line block ×3, first 2 shown]
	v_fma_f64 v[121:122], v[119:120], s[24:25], v[39:40]
	v_fma_f64 v[123:124], v[41:42], s[28:29], v[43:44]
	v_fma_f64 v[39:40], v[119:120], s[24:25], -v[39:40]
	v_fma_f64 v[41:42], v[41:42], s[26:27], v[43:44]
	v_add_f64 v[43:44], v[86:87], v[51:52]
	v_add_f64 v[51:52], v[88:89], v[55:56]
	v_fma_f64 v[55:56], v[100:101], s[10:11], v[37:38]
	v_fma_f64 v[86:87], v[33:34], s[12:13], v[117:118]
	v_add_f64 v[88:89], v[121:122], v[96:97]
	v_add_f64 v[96:97], v[123:124], v[115:116]
	;; [unrolled: 1-line block ×3, first 2 shown]
	v_mul_f64 v[39:40], v[98:99], s[48:49]
	v_fma_f64 v[37:38], v[100:101], s[10:11], -v[37:38]
	v_mul_f64 v[115:116], v[35:36], s[24:25]
	v_add_f64 v[55:56], v[55:56], v[72:73]
	v_add_f64 v[72:73], v[86:87], v[76:77]
	v_fma_f64 v[76:77], v[33:34], s[6:7], v[117:118]
	v_mul_f64 v[86:87], v[98:99], s[26:27]
	v_add_f64 v[3:4], v[41:42], v[3:4]
	v_mul_f64 v[41:42], v[35:36], s[46:47]
	v_fma_f64 v[117:118], v[100:101], s[46:47], v[39:40]
	v_fma_f64 v[39:40], v[100:101], s[46:47], -v[39:40]
	v_add_f64 v[37:38], v[37:38], v[45:46]
	v_add_f64 v[45:46], v[76:77], v[57:58]
	v_fma_f64 v[57:58], v[100:101], s[24:25], v[86:87]
	v_fma_f64 v[76:77], v[33:34], s[28:29], v[115:116]
	;; [unrolled: 1-line block ×4, first 2 shown]
	v_add_f64 v[39:40], v[39:40], v[47:48]
	v_mul_f64 v[47:48], v[98:99], s[22:23]
	v_add_f64 v[90:91], v[117:118], v[90:91]
	v_add_f64 v[57:58], v[57:58], v[70:71]
	;; [unrolled: 1-line block ×3, first 2 shown]
	v_fma_f64 v[74:75], v[100:101], s[24:25], -v[86:87]
	v_mul_f64 v[86:87], v[98:99], s[50:51]
	v_add_f64 v[41:42], v[41:42], v[49:50]
	v_mul_f64 v[49:50], v[35:36], s[14:15]
	v_fma_f64 v[76:77], v[33:34], s[26:27], v[115:116]
	v_mul_f64 v[115:116], v[35:36], s[52:53]
	v_fma_f64 v[117:118], v[100:101], s[14:15], v[47:48]
	v_fma_f64 v[47:48], v[100:101], s[14:15], -v[47:48]
	v_add_f64 v[74:75], v[74:75], v[78:79]
	v_fma_f64 v[78:79], v[100:101], s[52:53], v[86:87]
	v_add_f64 v[92:93], v[119:120], v[92:93]
	v_fma_f64 v[119:120], v[33:34], s[8:9], v[49:50]
	v_fma_f64 v[49:50], v[33:34], s[22:23], v[49:50]
	v_add_f64 v[76:77], v[76:77], v[80:81]
	v_fma_f64 v[80:81], v[33:34], s[54:55], v[115:116]
	v_add_f64 v[47:48], v[47:48], v[53:54]
	v_mul_f64 v[53:54], v[98:99], s[4:5]
	v_add_f64 v[78:79], v[78:79], v[82:83]
	v_mul_f64 v[82:83], v[98:99], s[34:35]
	v_add_f64 v[106:107], v[117:118], v[106:107]
	v_add_f64 v[49:50], v[49:50], v[59:60]
	v_mul_f64 v[59:60], v[35:36], s[2:3]
	v_add_f64 v[80:81], v[80:81], v[84:85]
	v_mul_f64 v[84:85], v[35:36], s[30:31]
	v_fma_f64 v[117:118], v[100:101], s[2:3], v[53:54]
	v_fma_f64 v[53:54], v[100:101], s[2:3], -v[53:54]
	v_fma_f64 v[121:122], v[100:101], s[30:31], v[82:83]
	v_add_f64 v[111:112], v[119:120], v[111:112]
	v_fma_f64 v[86:87], v[100:101], s[52:53], -v[86:87]
	v_fma_f64 v[119:120], v[33:34], s[0:1], v[59:60]
	v_fma_f64 v[59:60], v[33:34], s[4:5], v[59:60]
	;; [unrolled: 1-line block ×4, first 2 shown]
	v_add_f64 v[53:54], v[53:54], v[61:62]
	v_add_f64 v[61:62], v[121:122], v[66:67]
	v_add_f64 v[66:67], v[27:28], -v[31:32]
	v_add_f64 v[27:28], v[27:28], v[31:32]
	v_mul_f64 v[31:32], v[98:99], s[38:39]
	v_add_f64 v[59:60], v[59:60], v[63:64]
	v_add_f64 v[63:64], v[123:124], v[68:69]
	v_mul_f64 v[35:36], v[35:36], s[40:41]
	v_fma_f64 v[68:69], v[100:101], s[30:31], -v[82:83]
	v_fma_f64 v[82:83], v[33:34], s[34:35], v[84:85]
	v_add_f64 v[84:85], v[25:26], v[29:30]
	v_add_f64 v[25:26], v[25:26], -v[29:30]
	v_mul_f64 v[29:30], v[66:67], s[38:39]
	v_mul_f64 v[98:99], v[27:28], s[40:41]
	v_add_f64 v[86:87], v[86:87], v[94:95]
	v_add_f64 v[94:95], v[115:116], v[102:103]
	;; [unrolled: 1-line block ×4, first 2 shown]
	v_fma_f64 v[113:114], v[100:101], s[40:41], v[31:32]
	v_fma_f64 v[115:116], v[33:34], s[42:43], v[35:36]
	v_fma_f64 v[31:32], v[100:101], s[40:41], -v[31:32]
	v_fma_f64 v[33:34], v[33:34], s[38:39], v[35:36]
	v_add_f64 v[35:36], v[68:69], v[43:44]
	v_add_f64 v[43:44], v[82:83], v[51:52]
	v_fma_f64 v[51:52], v[84:85], s[40:41], v[29:30]
	v_fma_f64 v[68:69], v[25:26], s[42:43], v[98:99]
	v_add_f64 v[82:83], v[113:114], v[88:89]
	v_add_f64 v[88:89], v[115:116], v[96:97]
	;; [unrolled: 1-line block ×3, first 2 shown]
	v_mul_f64 v[31:32], v[66:67], s[12:13]
	v_fma_f64 v[29:30], v[84:85], s[40:41], -v[29:30]
	v_mul_f64 v[96:97], v[27:28], s[30:31]
	v_add_f64 v[51:52], v[51:52], v[55:56]
	v_add_f64 v[55:56], v[68:69], v[72:73]
	v_fma_f64 v[68:69], v[25:26], s[38:39], v[98:99]
	v_mul_f64 v[72:73], v[66:67], s[34:35]
	v_add_f64 v[3:4], v[33:34], v[3:4]
	v_mul_f64 v[33:34], v[27:28], s[10:11]
	v_fma_f64 v[98:99], v[84:85], s[10:11], v[31:32]
	v_fma_f64 v[31:32], v[84:85], s[10:11], -v[31:32]
	v_add_f64 v[29:30], v[29:30], v[37:38]
	v_add_f64 v[37:38], v[68:69], v[45:46]
	v_fma_f64 v[45:46], v[84:85], s[30:31], v[72:73]
	v_fma_f64 v[68:69], v[25:26], s[36:37], v[96:97]
	;; [unrolled: 1-line block ×4, first 2 shown]
	v_add_f64 v[31:32], v[31:32], v[39:40]
	v_mul_f64 v[39:40], v[66:67], s[44:45]
	v_add_f64 v[90:91], v[98:99], v[90:91]
	v_add_f64 v[45:46], v[45:46], v[57:58]
	;; [unrolled: 1-line block ×3, first 2 shown]
	v_fma_f64 v[68:69], v[84:85], s[30:31], -v[72:73]
	v_mul_f64 v[72:73], v[66:67], s[4:5]
	v_add_f64 v[33:34], v[33:34], v[41:42]
	v_mul_f64 v[41:42], v[27:28], s[46:47]
	v_fma_f64 v[70:71], v[25:26], s[34:35], v[96:97]
	v_mul_f64 v[96:97], v[27:28], s[2:3]
	v_fma_f64 v[98:99], v[84:85], s[46:47], v[39:40]
	v_fma_f64 v[39:40], v[84:85], s[46:47], -v[39:40]
	v_add_f64 v[68:69], v[68:69], v[74:75]
	v_fma_f64 v[74:75], v[84:85], s[2:3], v[72:73]
	v_add_f64 v[92:93], v[100:101], v[92:93]
	v_fma_f64 v[100:101], v[25:26], s[48:49], v[41:42]
	v_fma_f64 v[41:42], v[25:26], s[44:45], v[41:42]
	v_add_f64 v[70:71], v[70:71], v[76:77]
	v_fma_f64 v[76:77], v[25:26], s[0:1], v[96:97]
	v_add_f64 v[39:40], v[39:40], v[47:48]
	v_mul_f64 v[47:48], v[66:67], s[28:29]
	v_add_f64 v[74:75], v[74:75], v[78:79]
	v_mul_f64 v[78:79], v[66:67], s[50:51]
	v_add_f64 v[98:99], v[98:99], v[106:107]
	v_add_f64 v[41:42], v[41:42], v[49:50]
	v_mul_f64 v[49:50], v[27:28], s[24:25]
	v_add_f64 v[76:77], v[76:77], v[80:81]
	v_mul_f64 v[80:81], v[27:28], s[52:53]
	v_fma_f64 v[106:107], v[84:85], s[24:25], v[47:48]
	v_fma_f64 v[47:48], v[84:85], s[24:25], -v[47:48]
	v_fma_f64 v[113:114], v[84:85], s[52:53], v[78:79]
	v_add_f64 v[100:101], v[100:101], v[111:112]
	v_fma_f64 v[72:73], v[84:85], s[2:3], -v[72:73]
	v_fma_f64 v[111:112], v[25:26], s[26:27], v[49:50]
	v_fma_f64 v[49:50], v[25:26], s[28:29], v[49:50]
	;; [unrolled: 1-line block ×4, first 2 shown]
	v_add_f64 v[47:48], v[47:48], v[53:54]
	v_add_f64 v[53:54], v[113:114], v[61:62]
	v_add_f64 v[61:62], v[19:20], -v[23:24]
	v_add_f64 v[19:20], v[19:20], v[23:24]
	v_mul_f64 v[23:24], v[66:67], s[8:9]
	v_add_f64 v[49:50], v[49:50], v[59:60]
	v_add_f64 v[59:60], v[115:116], v[63:64]
	v_mul_f64 v[27:28], v[27:28], s[14:15]
	v_fma_f64 v[63:64], v[84:85], s[52:53], -v[78:79]
	v_add_f64 v[78:79], v[17:18], v[21:22]
	v_add_f64 v[17:18], v[17:18], -v[21:22]
	v_mul_f64 v[21:22], v[61:62], s[44:45]
	v_add_f64 v[72:73], v[72:73], v[86:87]
	v_add_f64 v[86:87], v[96:97], v[94:95]
	v_add_f64 v[94:95], v[106:107], v[102:103]
	v_add_f64 v[96:97], v[111:112], v[104:105]
	v_fma_f64 v[66:67], v[25:26], s[50:51], v[80:81]
	v_mul_f64 v[80:81], v[19:20], s[46:47]
	v_fma_f64 v[102:103], v[84:85], s[14:15], v[23:24]
	v_fma_f64 v[104:105], v[25:26], s[22:23], v[27:28]
	v_fma_f64 v[23:24], v[84:85], s[14:15], -v[23:24]
	v_fma_f64 v[25:26], v[25:26], s[8:9], v[27:28]
	v_fma_f64 v[27:28], v[78:79], s[46:47], v[21:22]
	v_add_f64 v[35:36], v[63:64], v[35:36]
	v_add_f64 v[63:64], v[66:67], v[43:44]
	v_fma_f64 v[43:44], v[17:18], s[48:49], v[80:81]
	v_add_f64 v[66:67], v[102:103], v[82:83]
	v_add_f64 v[82:83], v[104:105], v[88:89]
	v_mul_f64 v[84:85], v[61:62], s[8:9]
	v_mul_f64 v[88:89], v[19:20], s[14:15]
	v_add_f64 v[23:24], v[23:24], v[1:2]
	v_add_f64 v[27:28], v[27:28], v[51:52]
	v_fma_f64 v[1:2], v[78:79], s[46:47], -v[21:22]
	v_mul_f64 v[51:52], v[61:62], s[0:1]
	v_add_f64 v[25:26], v[25:26], v[3:4]
	v_add_f64 v[55:56], v[43:44], v[55:56]
	v_fma_f64 v[3:4], v[17:18], s[44:45], v[80:81]
	v_fma_f64 v[21:22], v[78:79], s[14:15], v[84:85]
	;; [unrolled: 1-line block ×3, first 2 shown]
	v_mul_f64 v[80:81], v[19:20], s[2:3]
	v_fma_f64 v[84:85], v[78:79], s[14:15], -v[84:85]
	v_fma_f64 v[88:89], v[17:18], s[8:9], v[88:89]
	v_add_f64 v[29:30], v[1:2], v[29:30]
	v_fma_f64 v[1:2], v[78:79], s[2:3], v[51:52]
	v_add_f64 v[102:103], v[3:4], v[37:38]
	v_add_f64 v[21:22], v[21:22], v[90:91]
	;; [unrolled: 1-line block ×3, first 2 shown]
	v_fma_f64 v[3:4], v[17:18], s[4:5], v[80:81]
	v_add_f64 v[84:85], v[84:85], v[31:32]
	v_add_f64 v[88:89], v[88:89], v[33:34]
	v_mul_f64 v[31:32], v[61:62], s[42:43]
	v_mul_f64 v[33:34], v[19:20], s[40:41]
	v_fma_f64 v[37:38], v[78:79], s[2:3], -v[51:52]
	v_add_f64 v[92:93], v[1:2], v[45:46]
	v_mul_f64 v[1:2], v[61:62], s[34:35]
	v_fma_f64 v[43:44], v[17:18], s[0:1], v[80:81]
	v_add_f64 v[104:105], v[3:4], v[57:58]
	v_mul_f64 v[3:4], v[19:20], s[30:31]
	v_fma_f64 v[45:46], v[78:79], s[40:41], v[31:32]
	v_fma_f64 v[51:52], v[17:18], s[38:39], v[33:34]
	v_add_f64 v[68:69], v[37:38], v[68:69]
	v_fma_f64 v[31:32], v[78:79], s[40:41], -v[31:32]
	v_fma_f64 v[37:38], v[78:79], s[30:31], v[1:2]
	v_add_f64 v[70:71], v[43:44], v[70:71]
	v_fma_f64 v[33:34], v[17:18], s[42:43], v[33:34]
	v_fma_f64 v[43:44], v[17:18], s[36:37], v[3:4]
	v_add_f64 v[98:99], v[45:46], v[98:99]
	v_add_f64 v[100:101], v[51:52], v[100:101]
	v_mul_f64 v[45:46], v[61:62], s[50:51]
	v_mul_f64 v[51:52], v[19:20], s[52:53]
	v_add_f64 v[74:75], v[37:38], v[74:75]
	v_fma_f64 v[1:2], v[78:79], s[30:31], -v[1:2]
	v_mul_f64 v[37:38], v[61:62], s[26:27]
	v_add_f64 v[106:107], v[31:32], v[39:40]
	v_add_f64 v[111:112], v[33:34], v[41:42]
	v_add_f64 v[113:114], v[43:44], v[76:77]
	v_fma_f64 v[3:4], v[17:18], s[34:35], v[3:4]
	v_fma_f64 v[31:32], v[78:79], s[52:53], v[45:46]
	;; [unrolled: 1-line block ×3, first 2 shown]
	v_mul_f64 v[39:40], v[19:20], s[24:25]
	v_fma_f64 v[43:44], v[17:18], s[50:51], v[51:52]
	v_add_f64 v[72:73], v[1:2], v[72:73]
	v_fma_f64 v[1:2], v[78:79], s[24:25], v[37:38]
	v_mul_f64 v[19:20], v[19:20], s[10:11]
	v_add_f64 v[115:116], v[3:4], v[86:87]
	v_add_f64 v[117:118], v[31:32], v[94:95]
	;; [unrolled: 1-line block ×3, first 2 shown]
	v_fma_f64 v[3:4], v[17:18], s[28:29], v[39:40]
	v_add_f64 v[51:52], v[43:44], v[49:50]
	v_fma_f64 v[33:34], v[78:79], s[24:25], -v[37:38]
	v_fma_f64 v[37:38], v[17:18], s[26:27], v[39:40]
	v_add_f64 v[43:44], v[1:2], v[53:54]
	v_add_f64 v[53:54], v[11:12], -v[15:16]
	v_mul_f64 v[31:32], v[61:62], s[6:7]
	v_add_f64 v[57:58], v[11:12], v[15:16]
	v_add_f64 v[49:50], v[3:4], v[59:60]
	v_fma_f64 v[41:42], v[78:79], s[52:53], -v[45:46]
	v_add_f64 v[59:60], v[33:34], v[35:36]
	v_add_f64 v[39:40], v[37:38], v[63:64]
	;; [unrolled: 1-line block ×3, first 2 shown]
	v_add_f64 v[37:38], v[9:10], -v[13:14]
	v_mul_f64 v[9:10], v[53:54], s[50:51]
	v_fma_f64 v[1:2], v[78:79], s[10:11], v[31:32]
	v_fma_f64 v[3:4], v[17:18], s[12:13], v[19:20]
	v_fma_f64 v[13:14], v[78:79], s[10:11], -v[31:32]
	v_fma_f64 v[15:16], v[17:18], s[6:7], v[19:20]
	v_mul_f64 v[17:18], v[53:54], s[36:37]
	v_mul_f64 v[11:12], v[57:58], s[52:53]
	;; [unrolled: 1-line block ×3, first 2 shown]
	v_fma_f64 v[31:32], v[35:36], s[52:53], v[9:10]
	v_add_f64 v[45:46], v[41:42], v[47:48]
	v_add_f64 v[41:42], v[1:2], v[66:67]
	;; [unrolled: 1-line block ×3, first 2 shown]
	v_fma_f64 v[61:62], v[35:36], s[52:53], -v[9:10]
	v_add_f64 v[3:4], v[13:14], v[23:24]
	v_fma_f64 v[13:14], v[35:36], s[30:31], v[17:18]
	v_fma_f64 v[47:48], v[37:38], s[54:55], v[11:12]
	v_add_f64 v[9:10], v[31:32], v[27:28]
	v_mul_f64 v[27:28], v[57:58], s[46:47]
	v_add_f64 v[33:34], v[15:16], v[25:26]
	v_fma_f64 v[11:12], v[37:38], s[50:51], v[11:12]
	v_fma_f64 v[15:16], v[37:38], s[34:35], v[19:20]
	v_mul_f64 v[23:24], v[53:54], s[44:45]
	v_add_f64 v[25:26], v[13:14], v[21:22]
	v_fma_f64 v[13:14], v[35:36], s[30:31], -v[17:18]
	v_add_f64 v[77:78], v[61:62], v[29:30]
	v_fma_f64 v[21:22], v[37:38], s[48:49], v[27:28]
	v_fma_f64 v[27:28], v[37:38], s[44:45], v[27:28]
	v_add_f64 v[79:80], v[11:12], v[102:103]
	v_add_f64 v[11:12], v[15:16], v[90:91]
	v_fma_f64 v[15:16], v[37:38], s[36:37], v[19:20]
	v_mul_f64 v[19:20], v[53:54], s[26:27]
	v_fma_f64 v[17:18], v[35:36], s[46:47], v[23:24]
	v_fma_f64 v[23:24], v[35:36], s[46:47], -v[23:24]
	v_mul_f64 v[29:30], v[57:58], s[24:25]
	v_add_f64 v[83:84], v[13:14], v[84:85]
	v_add_f64 v[85:86], v[27:28], v[70:71]
	v_mul_f64 v[27:28], v[57:58], s[40:41]
	v_add_f64 v[31:32], v[47:48], v[55:56]
	v_fma_f64 v[47:48], v[35:36], s[24:25], v[19:20]
	v_mul_f64 v[55:56], v[57:58], s[14:15]
	v_add_f64 v[81:82], v[15:16], v[88:89]
	v_add_f64 v[87:88], v[23:24], v[68:69]
	v_mul_f64 v[23:24], v[53:54], s[38:39]
	v_add_f64 v[15:16], v[21:22], v[104:105]
	v_fma_f64 v[21:22], v[37:38], s[28:29], v[29:30]
	v_fma_f64 v[61:62], v[37:38], s[42:43], v[27:28]
	v_add_f64 v[13:14], v[17:18], v[92:93]
	v_add_f64 v[17:18], v[47:48], v[98:99]
	v_fma_f64 v[47:48], v[35:36], s[24:25], -v[19:20]
	v_fma_f64 v[29:30], v[37:38], s[26:27], v[29:30]
	v_mul_f64 v[66:67], v[53:54], s[8:9]
	v_fma_f64 v[27:28], v[37:38], s[38:39], v[27:28]
	v_fma_f64 v[68:69], v[37:38], s[22:23], v[55:56]
	v_fma_f64 v[63:64], v[35:36], s[40:41], -v[23:24]
	v_add_f64 v[19:20], v[21:22], v[100:101]
	v_fma_f64 v[21:22], v[35:36], s[40:41], v[23:24]
	v_mul_lo_u32 v76, v110, v65
	v_add_f64 v[23:24], v[61:62], v[113:114]
	v_mul_f64 v[61:62], v[57:58], s[10:11]
	v_add_f64 v[91:92], v[47:48], v[106:107]
	v_add_f64 v[89:90], v[29:30], v[111:112]
	v_fma_f64 v[29:30], v[35:36], s[14:15], v[66:67]
	v_add_f64 v[47:48], v[27:28], v[115:116]
	v_add_f64 v[27:28], v[68:69], v[95:96]
	v_fma_f64 v[66:67], v[35:36], s[14:15], -v[66:67]
	v_lshrrev_b32_e32 v69, 2, v76
	v_fma_f64 v[55:56], v[37:38], s[8:9], v[55:56]
	v_and_b32_e32 v68, 63, v76
	v_and_b32_e32 v69, 0x3f0, v69
	s_add_i32 s8, 0, 0x7e70
	v_add_f64 v[93:94], v[63:64], v[72:73]
	v_mul_f64 v[63:64], v[53:54], s[6:7]
	v_lshl_add_u32 v68, v68, 4, 0
	v_add_u32_e32 v72, s8, v69
	v_add_f64 v[21:22], v[21:22], v[74:75]
	ds_read_b128 v[68:71], v68 offset:32368
	ds_read_b128 v[72:75], v72 offset:1024
	v_fma_f64 v[97:98], v[37:38], s[12:13], v[61:62]
	v_add_f64 v[45:46], v[66:67], v[45:46]
	v_lshl_add_u32 v65, v65, 4, v65
	v_fma_f64 v[95:96], v[35:36], s[10:11], v[63:64]
	s_waitcnt lgkmcnt(0)
	v_mul_f64 v[66:67], v[70:71], v[74:75]
	v_fma_f64 v[63:64], v[35:36], s[10:11], -v[63:64]
	v_mul_f64 v[74:75], v[68:69], v[74:75]
	v_add_f64 v[51:52], v[55:56], v[51:52]
	v_add_f64 v[55:56], v[97:98], v[49:50]
	v_mul_f64 v[97:98], v[57:58], s[2:3]
	v_lshrrev_b32_e32 v57, 8, v76
	v_add_u32_e32 v76, v76, v65
	v_fma_f64 v[101:102], v[68:69], v[72:73], -v[66:67]
	v_lshrrev_b32_e32 v66, 2, v76
	v_and_b32_e32 v57, 0x3f0, v57
	v_and_b32_e32 v58, 63, v76
	;; [unrolled: 1-line block ×3, first 2 shown]
	v_mul_f64 v[99:100], v[53:54], s[4:5]
	v_add_f64 v[53:54], v[95:96], v[43:44]
	v_fma_f64 v[43:44], v[37:38], s[6:7], v[61:62]
	v_add_u32_e32 v57, s8, v57
	v_lshl_add_u32 v61, v58, 4, 0
	v_add_u32_e32 v66, s8, v66
	v_add_f64 v[49:50], v[63:64], v[59:60]
	ds_read_b128 v[57:60], v57 offset:2048
	ds_read_b128 v[61:64], v61 offset:32368
	;; [unrolled: 1-line block ×3, first 2 shown]
	v_fma_f64 v[74:75], v[70:71], v[72:73], v[74:75]
	v_lshrrev_b32_e32 v70, 8, v76
	v_and_b32_e32 v70, 0x3f0, v70
	v_add_u32_e32 v70, s8, v70
	ds_read_b128 v[70:73], v70 offset:2048
	s_waitcnt lgkmcnt(1)
	v_mul_f64 v[103:104], v[63:64], v[68:69]
	v_fma_f64 v[95:96], v[35:36], s[2:3], v[99:100]
	v_add_f64 v[43:44], v[43:44], v[39:40]
	v_fma_f64 v[39:40], v[37:38], s[0:1], v[97:98]
	v_fma_f64 v[99:100], v[35:36], s[2:3], -v[99:100]
	v_fma_f64 v[105:106], v[37:38], s[4:5], v[97:98]
	v_mul_f64 v[35:36], v[101:102], v[59:60]
	v_mul_f64 v[37:38], v[61:62], v[68:69]
	v_fma_f64 v[103:104], v[61:62], v[66:67], -v[103:104]
	v_add_u32_e32 v76, v76, v65
	v_mul_f64 v[107:108], v[74:75], v[59:60]
	v_and_b32_e32 v59, 63, v76
	v_lshrrev_b32_e32 v60, 2, v76
	v_lshl_add_u32 v59, v59, 4, 0
	v_and_b32_e32 v60, 0x3f0, v60
	v_add_f64 v[41:42], v[95:96], v[41:42]
	v_add_u32_e32 v68, s8, v60
	ds_read_b128 v[59:62], v59 offset:32368
	ds_read_b128 v[95:98], v68 offset:1024
	v_fma_f64 v[68:69], v[57:58], v[74:75], v[35:36]
	v_add_f64 v[35:36], v[39:40], v[1:2]
	v_fma_f64 v[1:2], v[63:64], v[66:67], v[37:38]
	s_waitcnt lgkmcnt(2)
	v_mul_f64 v[63:64], v[103:104], v[72:73]
	s_waitcnt lgkmcnt(0)
	v_mul_f64 v[66:67], v[61:62], v[97:98]
	v_add_f64 v[39:40], v[105:106], v[33:34]
	v_add_f64 v[37:38], v[99:100], v[3:4]
	v_fma_f64 v[3:4], v[57:58], v[101:102], -v[107:108]
	v_mul_f64 v[33:34], v[7:8], v[68:69]
	v_mul_f64 v[101:102], v[5:6], v[68:69]
	;; [unrolled: 1-line block ×3, first 2 shown]
	v_fma_f64 v[63:64], v[70:71], v[1:2], v[63:64]
	v_lshrrev_b32_e32 v1, 8, v76
	v_and_b32_e32 v1, 0x3f0, v1
	v_add_u32_e32 v76, v76, v65
	v_add_u32_e32 v1, s8, v1
	v_and_b32_e32 v2, 63, v76
	v_fma_f64 v[107:108], v[59:60], v[95:96], -v[66:67]
	v_mul_f64 v[111:112], v[59:60], v[97:98]
	v_lshl_add_u32 v2, v2, 4, 0
	ds_read_b128 v[57:60], v1 offset:2048
	ds_read_b128 v[66:69], v2 offset:32368
	v_lshrrev_b32_e32 v1, 2, v76
	v_and_b32_e32 v1, 0x3f0, v1
	v_add_u32_e32 v1, s8, v1
	ds_read_b128 v[72:75], v1 offset:1024
	v_lshrrev_b32_e32 v1, 8, v76
	v_and_b32_e32 v1, 0x3f0, v1
	v_add_u32_e32 v1, s8, v1
	ds_read_b128 v[97:100], v1 offset:2048
	s_waitcnt lgkmcnt(1)
	v_mul_f64 v[113:114], v[68:69], v[74:75]
	v_fma_f64 v[1:2], v[5:6], v[3:4], v[33:34]
	v_fma_f64 v[3:4], v[7:8], v[3:4], -v[101:102]
	v_fma_f64 v[7:8], v[70:71], v[103:104], -v[105:106]
	v_fma_f64 v[70:71], v[61:62], v[95:96], v[111:112]
	v_add_u32_e32 v76, v76, v65
	v_and_b32_e32 v61, 63, v76
	v_lshrrev_b32_e32 v62, 2, v76
	v_fma_f64 v[105:106], v[66:67], v[72:73], -v[113:114]
	v_mul_f64 v[66:67], v[66:67], v[74:75]
	v_lshl_add_u32 v61, v61, 4, 0
	v_and_b32_e32 v62, 0x3f0, v62
	v_mul_f64 v[5:6], v[31:32], v[63:64]
	v_mul_f64 v[33:34], v[9:10], v[63:64]
	v_add_u32_e32 v74, s8, v62
	ds_read_b128 v[61:64], v61 offset:32368
	ds_read_b128 v[101:104], v74 offset:1024
	v_mul_f64 v[95:96], v[107:108], v[59:60]
	v_mul_f64 v[59:60], v[70:71], v[59:60]
	v_fma_f64 v[66:67], v[68:69], v[72:73], v[66:67]
	s_waitcnt lgkmcnt(2)
	v_mul_f64 v[68:69], v[105:106], v[99:100]
	s_waitcnt lgkmcnt(0)
	v_mul_f64 v[72:73], v[63:64], v[103:104]
	v_mul_f64 v[74:75], v[61:62], v[103:104]
	v_fma_f64 v[5:6], v[9:10], v[7:8], v[5:6]
	v_fma_f64 v[7:8], v[31:32], v[7:8], -v[33:34]
	v_lshrrev_b32_e32 v31, 8, v76
	v_add_u32_e32 v76, v76, v65
	v_fma_f64 v[70:71], v[57:58], v[70:71], v[95:96]
	v_fma_f64 v[103:104], v[57:58], v[107:108], -v[59:60]
	v_fma_f64 v[107:108], v[61:62], v[101:102], -v[72:73]
	v_lshrrev_b32_e32 v61, 2, v76
	v_and_b32_e32 v31, 0x3f0, v31
	v_and_b32_e32 v32, 63, v76
	v_and_b32_e32 v61, 0x3f0, v61
	v_add_u32_e32 v31, s8, v31
	v_lshl_add_u32 v57, v32, 4, 0
	v_add_u32_e32 v61, s8, v61
	v_fma_f64 v[74:75], v[63:64], v[101:102], v[74:75]
	ds_read_b128 v[31:34], v31 offset:2048
	ds_read_b128 v[57:60], v57 offset:32368
	;; [unrolled: 1-line block ×3, first 2 shown]
	v_mul_f64 v[95:96], v[66:67], v[99:100]
	v_fma_f64 v[99:100], v[97:98], v[66:67], v[68:69]
	v_lshrrev_b32_e32 v66, 8, v76
	v_and_b32_e32 v66, 0x3f0, v66
	v_add_u32_e32 v66, s8, v66
	ds_read_b128 v[66:69], v66 offset:2048
	v_mul_f64 v[9:10], v[11:12], v[70:71]
	s_waitcnt lgkmcnt(1)
	v_mul_f64 v[72:73], v[59:60], v[63:64]
	v_mul_f64 v[111:112], v[74:75], v[33:34]
	;; [unrolled: 1-line block ×3, first 2 shown]
	v_fma_f64 v[101:102], v[97:98], v[105:106], -v[95:96]
	v_mul_f64 v[105:106], v[15:16], v[99:100]
	v_mul_f64 v[99:100], v[13:14], v[99:100]
	v_add_f64 v[29:30], v[29:30], v[117:118]
	v_fma_f64 v[9:10], v[25:26], v[103:104], v[9:10]
	v_mul_f64 v[25:26], v[25:26], v[70:71]
	v_fma_f64 v[113:114], v[57:58], v[61:62], -v[72:73]
	v_mul_f64 v[57:58], v[57:58], v[63:64]
	v_add_u32_e32 v63, v76, v65
	v_and_b32_e32 v64, 63, v63
	v_lshrrev_b32_e32 v70, 2, v63
	v_lshl_add_u32 v64, v64, 4, 0
	v_and_b32_e32 v70, 0x3f0, v70
	v_add_u32_e32 v76, s8, v70
	ds_read_b128 v[70:73], v64 offset:32368
	ds_read_b128 v[95:98], v76 offset:1024
	v_fma_f64 v[11:12], v[11:12], v[103:104], -v[25:26]
	v_fma_f64 v[25:26], v[59:60], v[61:62], v[57:58]
	s_waitcnt lgkmcnt(2)
	v_mul_f64 v[57:58], v[113:114], v[68:69]
	v_fma_f64 v[33:34], v[31:32], v[74:75], v[33:34]
	s_waitcnt lgkmcnt(0)
	v_mul_f64 v[59:60], v[72:73], v[97:98]
	v_add_u32_e32 v76, v63, v65
	v_fma_f64 v[74:75], v[31:32], v[107:108], -v[111:112]
	v_lshrrev_b32_e32 v31, 8, v63
	v_lshrrev_b32_e32 v61, 2, v76
	v_and_b32_e32 v31, 0x3f0, v31
	v_and_b32_e32 v32, 63, v76
	;; [unrolled: 1-line block ×3, first 2 shown]
	v_mul_f64 v[103:104], v[25:26], v[68:69]
	v_fma_f64 v[25:26], v[66:67], v[25:26], v[57:58]
	v_add_u32_e32 v31, s8, v31
	v_lshl_add_u32 v57, v32, 4, 0
	v_add_u32_e32 v61, s8, v61
	v_fma_f64 v[13:14], v[13:14], v[101:102], v[105:106]
	v_fma_f64 v[15:16], v[15:16], v[101:102], -v[99:100]
	v_mul_f64 v[99:100], v[19:20], v[33:34]
	v_mul_f64 v[101:102], v[17:18], v[33:34]
	v_fma_f64 v[105:106], v[70:71], v[95:96], -v[59:60]
	ds_read_b128 v[31:34], v31 offset:2048
	ds_read_b128 v[57:60], v57 offset:32368
	;; [unrolled: 1-line block ×3, first 2 shown]
	v_lshrrev_b32_e32 v68, 8, v76
	v_and_b32_e32 v68, 0x3f0, v68
	v_mul_f64 v[97:98], v[70:71], v[97:98]
	v_add_u32_e32 v68, s8, v68
	ds_read_b128 v[68:71], v68 offset:2048
	s_waitcnt lgkmcnt(1)
	v_mul_f64 v[107:108], v[59:60], v[63:64]
	v_fma_f64 v[19:20], v[19:20], v[74:75], -v[101:102]
	v_add_u32_e32 v76, v76, v65
	v_fma_f64 v[17:18], v[17:18], v[74:75], v[99:100]
	v_fma_f64 v[66:67], v[66:67], v[113:114], -v[103:104]
	v_fma_f64 v[101:102], v[72:73], v[95:96], v[97:98]
	v_mul_f64 v[99:100], v[23:24], v[25:26]
	v_mul_f64 v[103:104], v[105:106], v[33:34]
	v_fma_f64 v[107:108], v[57:58], v[61:62], -v[107:108]
	v_mul_f64 v[57:58], v[57:58], v[63:64]
	v_and_b32_e32 v63, 63, v76
	v_lshrrev_b32_e32 v64, 2, v76
	v_lshl_add_u32 v63, v63, 4, 0
	v_and_b32_e32 v64, 0x3f0, v64
	v_add_u32_e32 v64, s8, v64
	ds_read_b128 v[72:75], v63 offset:32368
	ds_read_b128 v[95:98], v64 offset:1024
	v_mul_f64 v[33:34], v[101:102], v[33:34]
	v_fma_f64 v[57:58], v[59:60], v[61:62], v[57:58]
	v_mul_f64 v[25:26], v[21:22], v[25:26]
	s_waitcnt lgkmcnt(2)
	v_mul_f64 v[59:60], v[107:108], v[70:71]
	s_waitcnt lgkmcnt(0)
	v_mul_f64 v[61:62], v[74:75], v[97:98]
	v_mul_f64 v[63:64], v[72:73], v[97:98]
	v_fma_f64 v[101:102], v[31:32], v[101:102], v[103:104]
	v_fma_f64 v[21:22], v[21:22], v[66:67], v[99:100]
	v_fma_f64 v[99:100], v[31:32], v[105:106], -v[33:34]
	v_lshrrev_b32_e32 v31, 8, v76
	v_add_u32_e32 v76, v76, v65
	v_and_b32_e32 v31, 0x3f0, v31
	v_fma_f64 v[103:104], v[72:73], v[95:96], -v[61:62]
	v_lshrrev_b32_e32 v61, 2, v76
	v_and_b32_e32 v32, 63, v76
	v_and_b32_e32 v61, 0x3f0, v61
	v_add_u32_e32 v31, s8, v31
	v_lshl_add_u32 v32, v32, 4, 0
	v_add_u32_e32 v61, s8, v61
	v_fma_f64 v[23:24], v[23:24], v[66:67], -v[25:26]
	v_mul_f64 v[66:67], v[57:58], v[70:71]
	v_fma_f64 v[97:98], v[68:69], v[57:58], v[59:60]
	v_fma_f64 v[74:75], v[74:75], v[95:96], v[63:64]
	ds_read_b128 v[57:60], v31 offset:2048
	ds_read_b128 v[31:34], v32 offset:32368
	;; [unrolled: 1-line block ×3, first 2 shown]
	v_lshrrev_b32_e32 v70, 8, v76
	v_and_b32_e32 v70, 0x3f0, v70
	v_add_u32_e32 v70, s8, v70
	ds_read_b128 v[70:73], v70 offset:2048
	s_waitcnt lgkmcnt(1)
	v_mul_f64 v[95:96], v[33:34], v[63:64]
	v_mul_f64 v[25:26], v[27:28], v[101:102]
	v_mul_f64 v[111:112], v[74:75], v[59:60]
	v_mul_f64 v[59:60], v[103:104], v[59:60]
	v_add_u32_e32 v76, v76, v65
	v_mul_f64 v[105:106], v[55:56], v[97:98]
	s_mov_b32 s0, 0x226b903
	v_mul_hi_u32 v0, v0, s0
	v_fma_f64 v[113:114], v[31:32], v[61:62], -v[95:96]
	v_mul_f64 v[31:32], v[31:32], v[63:64]
	v_and_b32_e32 v63, 63, v76
	v_lshrrev_b32_e32 v64, 2, v76
	v_fma_f64 v[25:26], v[29:30], v[99:100], v[25:26]
	v_mul_f64 v[29:30], v[29:30], v[101:102]
	v_fma_f64 v[101:102], v[68:69], v[107:108], -v[66:67]
	v_mul_f64 v[107:108], v[53:54], v[97:98]
	v_lshl_add_u32 v63, v63, 4, 0
	v_and_b32_e32 v64, 0x3f0, v64
	v_fma_f64 v[33:34], v[33:34], v[61:62], v[31:32]
	s_waitcnt lgkmcnt(0)
	v_mul_f64 v[61:62], v[113:114], v[72:73]
	v_add_u32_e32 v64, s8, v64
	ds_read_b128 v[66:69], v63 offset:32368
	ds_read_b128 v[95:98], v64 offset:1024
	v_fma_f64 v[59:60], v[57:58], v[74:75], v[59:60]
	v_fma_f64 v[27:28], v[27:28], v[99:100], -v[29:30]
	v_fma_f64 v[29:30], v[53:54], v[101:102], v[105:106]
	v_fma_f64 v[31:32], v[55:56], v[101:102], -v[107:108]
	s_waitcnt lgkmcnt(0)
	v_mul_f64 v[63:64], v[68:69], v[97:98]
	v_mul_f64 v[105:106], v[33:34], v[72:73]
	v_fma_f64 v[107:108], v[70:71], v[33:34], v[61:62]
	v_lshrrev_b32_e32 v33, 8, v76
	v_and_b32_e32 v33, 0x3f0, v33
	v_add_u32_e32 v76, v76, v65
	v_add_u32_e32 v33, s8, v33
	v_and_b32_e32 v34, 63, v76
	v_fma_f64 v[99:100], v[57:58], v[103:104], -v[111:112]
	v_mul_f64 v[101:102], v[35:36], v[59:60]
	v_mul_f64 v[103:104], v[41:42], v[59:60]
	v_lshl_add_u32 v34, v34, 4, 0
	ds_read_b128 v[53:56], v33 offset:2048
	ds_read_b128 v[57:60], v34 offset:32368
	v_lshrrev_b32_e32 v33, 2, v76
	v_and_b32_e32 v33, 0x3f0, v33
	v_add_u32_e32 v33, s8, v33
	v_fma_f64 v[111:112], v[66:67], v[95:96], -v[63:64]
	ds_read_b128 v[61:64], v33 offset:1024
	v_mul_f64 v[66:67], v[66:67], v[97:98]
	v_lshrrev_b32_e32 v33, 8, v76
	v_and_b32_e32 v33, 0x3f0, v33
	v_add_u32_e32 v33, s8, v33
	s_waitcnt lgkmcnt(0)
	v_mul_f64 v[97:98], v[59:60], v[63:64]
	ds_read_b128 v[72:75], v33 offset:2048
	v_fma_f64 v[33:34], v[41:42], v[99:100], v[101:102]
	v_fma_f64 v[41:42], v[70:71], v[113:114], -v[105:106]
	v_fma_f64 v[101:102], v[68:69], v[95:96], v[66:67]
	v_add_u32_e32 v76, v76, v65
	v_fma_f64 v[35:36], v[35:36], v[99:100], -v[103:104]
	v_mul_f64 v[70:71], v[39:40], v[107:108]
	v_fma_f64 v[105:106], v[57:58], v[61:62], -v[97:98]
	v_mul_f64 v[57:58], v[57:58], v[63:64]
	v_and_b32_e32 v63, 63, v76
	v_lshrrev_b32_e32 v64, 2, v76
	v_lshl_add_u32 v63, v63, 4, 0
	v_and_b32_e32 v64, 0x3f0, v64
	v_add_u32_e32 v64, s8, v64
	ds_read_b128 v[66:69], v63 offset:32368
	ds_read_b128 v[95:98], v64 offset:1024
	v_mul_f64 v[103:104], v[111:112], v[55:56]
	v_mul_f64 v[55:56], v[101:102], v[55:56]
	;; [unrolled: 1-line block ×3, first 2 shown]
	v_fma_f64 v[57:58], v[59:60], v[61:62], v[57:58]
	s_waitcnt lgkmcnt(0)
	v_mul_f64 v[61:62], v[68:69], v[97:98]
	v_mul_f64 v[59:60], v[105:106], v[74:75]
	;; [unrolled: 1-line block ×3, first 2 shown]
	v_fma_f64 v[37:38], v[37:38], v[41:42], v[70:71]
	v_fma_f64 v[107:108], v[53:54], v[101:102], v[103:104]
	v_fma_f64 v[70:71], v[53:54], v[111:112], -v[55:56]
	v_lshrrev_b32_e32 v53, 8, v76
	v_add_u32_e32 v76, v76, v65
	v_fma_f64 v[39:40], v[39:40], v[41:42], -v[99:100]
	v_fma_f64 v[99:100], v[66:67], v[95:96], -v[61:62]
	v_lshrrev_b32_e32 v61, 2, v76
	v_mul_f64 v[74:75], v[57:58], v[74:75]
	v_fma_f64 v[97:98], v[72:73], v[57:58], v[59:60]
	v_and_b32_e32 v53, 0x3f0, v53
	v_and_b32_e32 v57, 63, v76
	;; [unrolled: 1-line block ×3, first 2 shown]
	v_add_u32_e32 v53, s8, v53
	v_lshl_add_u32 v57, v57, 4, 0
	v_add_u32_e32 v61, s8, v61
	v_fma_f64 v[66:67], v[68:69], v[95:96], v[63:64]
	ds_read_b128 v[53:56], v53 offset:2048
	ds_read_b128 v[57:60], v57 offset:32368
	;; [unrolled: 1-line block ×3, first 2 shown]
	v_lshrrev_b32_e32 v95, 8, v76
	v_and_b32_e32 v95, 0x3f0, v95
	v_add_u32_e32 v95, s8, v95
	ds_read_b128 v[101:104], v95 offset:2048
	v_mul_f64 v[41:42], v[43:44], v[107:108]
	s_waitcnt lgkmcnt(3)
	v_mul_f64 v[68:69], v[99:100], v[55:56]
	s_waitcnt lgkmcnt(1)
	v_mul_f64 v[95:96], v[59:60], v[63:64]
	v_add_u32_e32 v76, v76, v65
	v_fma_f64 v[72:73], v[72:73], v[105:106], -v[74:75]
	v_mul_f64 v[105:106], v[66:67], v[55:56]
	v_mul_f64 v[63:64], v[57:58], v[63:64]
	v_lshrrev_b32_e32 v56, 2, v76
	v_fma_f64 v[41:42], v[49:50], v[70:71], v[41:42]
	v_mul_f64 v[49:50], v[49:50], v[107:108]
	v_fma_f64 v[107:108], v[53:54], v[66:67], v[68:69]
	v_fma_f64 v[112:113], v[57:58], v[61:62], -v[95:96]
	v_and_b32_e32 v55, 63, v76
	v_and_b32_e32 v56, 0x3f0, v56
	v_lshl_add_u32 v55, v55, 4, 0
	v_add_u32_e32 v66, s8, v56
	ds_read_b128 v[55:58], v55 offset:32368
	ds_read_b128 v[66:69], v66 offset:1024
	v_mul_f64 v[74:75], v[51:52], v[97:98]
	v_mul_f64 v[97:98], v[45:46], v[97:98]
	v_fma_f64 v[59:60], v[59:60], v[61:62], v[63:64]
	v_fma_f64 v[95:96], v[53:54], v[99:100], -v[105:106]
	s_waitcnt lgkmcnt(0)
	v_mul_f64 v[63:64], v[57:58], v[68:69]
	v_mul_f64 v[68:69], v[55:56], v[68:69]
	;; [unrolled: 1-line block ×4, first 2 shown]
	v_fma_f64 v[43:44], v[43:44], v[70:71], -v[49:50]
	v_fma_f64 v[51:52], v[51:52], v[72:73], -v[97:98]
	v_fma_f64 v[49:50], v[45:46], v[72:73], v[74:75]
	v_mul_f64 v[103:104], v[59:60], v[103:104]
	v_fma_f64 v[97:98], v[55:56], v[66:67], -v[63:64]
	v_fma_f64 v[114:115], v[57:58], v[66:67], v[68:69]
	v_add_u32_e32 v66, v76, v65
	v_fma_f64 v[45:46], v[93:94], v[95:96], v[53:54]
	v_fma_f64 v[99:100], v[101:102], v[59:60], v[61:62]
	v_lshrrev_b32_e32 v53, 8, v76
	v_lshrrev_b32_e32 v61, 2, v66
	v_and_b32_e32 v53, 0x3f0, v53
	v_and_b32_e32 v57, 63, v66
	;; [unrolled: 1-line block ×3, first 2 shown]
	v_add_u32_e32 v53, s8, v53
	v_lshl_add_u32 v57, v57, 4, 0
	v_add_u32_e32 v61, s8, v61
	ds_read_b128 v[53:56], v53 offset:2048
	ds_read_b128 v[57:60], v57 offset:32368
	;; [unrolled: 1-line block ×3, first 2 shown]
	v_add_u32_e32 v111, v66, v65
	v_lshrrev_b32_e32 v67, 8, v66
	v_and_b32_e32 v65, 63, v111
	v_lshrrev_b32_e32 v66, 2, v111
	v_lshl_add_u32 v65, v65, 4, 0
	v_and_b32_e32 v66, 0x3f0, v66
	v_add_u32_e32 v66, s8, v66
	ds_read_b128 v[69:72], v65 offset:32368
	ds_read_b128 v[73:76], v66 offset:1024
	s_waitcnt lgkmcnt(2)
	v_mul_f64 v[118:119], v[59:60], v[63:64]
	v_mul_f64 v[116:117], v[97:98], v[55:56]
	;; [unrolled: 1-line block ×3, first 2 shown]
	v_and_b32_e32 v65, 0x3f0, v67
	s_waitcnt lgkmcnt(0)
	v_mul_f64 v[120:121], v[71:72], v[75:76]
	v_add_u32_e32 v65, s8, v65
	ds_read_b128 v[65:68], v65 offset:2048
	v_mul_f64 v[105:106], v[93:94], v[107:108]
	v_fma_f64 v[57:58], v[57:58], v[61:62], -v[118:119]
	v_mul_f64 v[107:108], v[114:115], v[55:56]
	v_fma_f64 v[93:94], v[101:102], v[112:113], -v[103:104]
	v_fma_f64 v[101:102], v[53:54], v[114:115], v[116:117]
	v_fma_f64 v[55:56], v[69:70], v[73:74], -v[120:121]
	v_mul_f64 v[69:70], v[69:70], v[75:76]
	v_lshrrev_b32_e32 v75, 8, v111
	v_and_b32_e32 v75, 0x3f0, v75
	v_add_u32_e32 v75, s8, v75
	ds_read_b128 v[111:114], v75 offset:2048
	v_fma_f64 v[59:60], v[59:60], v[61:62], v[63:64]
	s_waitcnt lgkmcnt(1)
	v_mul_f64 v[61:62], v[57:58], v[67:68]
	v_mul_f64 v[103:104], v[89:90], v[99:100]
	;; [unrolled: 1-line block ×3, first 2 shown]
	v_fma_f64 v[69:70], v[71:72], v[73:74], v[69:70]
	s_waitcnt lgkmcnt(0)
	v_mul_f64 v[71:72], v[55:56], v[113:114]
	v_fma_f64 v[73:74], v[53:54], v[97:98], -v[107:108]
	v_mul_f64 v[53:54], v[85:86], v[101:102]
	v_mul_f64 v[67:68], v[59:60], v[67:68]
	v_fma_f64 v[75:76], v[65:66], v[59:60], v[61:62]
	v_fma_f64 v[59:60], v[91:92], v[93:94], v[103:104]
	v_fma_f64 v[61:62], v[89:90], v[93:94], -v[63:64]
	v_mul_f64 v[91:92], v[69:70], v[113:114]
	v_mul_f64 v[63:64], v[87:88], v[101:102]
	s_movk_i32 s0, 0x121
	v_mad_u32_u24 v0, v0, s0, v110
	v_fma_f64 v[57:58], v[65:66], v[57:58], -v[67:68]
	v_mul_f64 v[65:66], v[81:82], v[75:76]
	v_mul_f64 v[67:68], v[83:84], v[75:76]
	v_fma_f64 v[69:70], v[111:112], v[69:70], v[71:72]
	v_fma_f64 v[53:54], v[87:88], v[73:74], v[53:54]
	v_fma_f64 v[71:72], v[111:112], v[55:56], -v[91:92]
	v_fma_f64 v[55:56], v[85:86], v[73:74], -v[63:64]
	v_mul_lo_u32 v73, s20, v0
	v_fma_f64 v[47:48], v[47:48], v[95:96], -v[105:106]
	v_fma_f64 v[63:64], v[83:84], v[57:58], v[65:66]
	v_fma_f64 v[65:66], v[81:82], v[57:58], -v[67:68]
	v_add_u32_e32 v58, 17, v0
	v_mul_lo_u32 v58, s20, v58
	v_add_lshl_u32 v57, v109, v73, 4
	v_cndmask_b32_e32 v57, -1, v57, vcc
	buffer_store_dwordx4 v[1:4], v57, s[16:19], s21 offen
	v_add_u32_e32 v1, 34, v0
	v_add_lshl_u32 v2, v109, v58, 4
	v_mul_lo_u32 v1, s20, v1
	v_cndmask_b32_e32 v2, -1, v2, vcc
	buffer_store_dwordx4 v[5:8], v2, s[16:19], s21 offen
	v_add_u32_e32 v2, 51, v0
	v_mul_lo_u32 v2, s20, v2
	v_add_lshl_u32 v1, v109, v1, 4
	v_cndmask_b32_e32 v1, -1, v1, vcc
	buffer_store_dwordx4 v[9:12], v1, s[16:19], s21 offen
	v_add_u32_e32 v1, 0x44, v0
	v_add_lshl_u32 v2, v109, v2, 4
	v_mul_lo_u32 v1, s20, v1
	v_cndmask_b32_e32 v2, -1, v2, vcc
	buffer_store_dwordx4 v[13:16], v2, s[16:19], s21 offen
	;; [unrolled: 10-line block ×5, first 2 shown]
	v_add_u32_e32 v2, 0xbb, v0
	v_mul_lo_u32 v2, s20, v2
	v_add_lshl_u32 v1, v109, v1, 4
	v_cndmask_b32_e32 v1, -1, v1, vcc
	v_mul_f64 v[75:76], v[79:80], v[69:70]
	v_mul_f64 v[69:70], v[77:78], v[69:70]
	buffer_store_dwordx4 v[41:44], v1, s[16:19], s21 offen
	v_add_u32_e32 v1, 0xcc, v0
	v_add_lshl_u32 v2, v109, v2, 4
	v_mul_lo_u32 v1, s20, v1
	v_cndmask_b32_e32 v2, -1, v2, vcc
	buffer_store_dwordx4 v[49:52], v2, s[16:19], s21 offen
	v_add_u32_e32 v2, 0xdd, v0
	v_mul_lo_u32 v2, s20, v2
	v_add_lshl_u32 v1, v109, v1, 4
	v_cndmask_b32_e32 v1, -1, v1, vcc
	buffer_store_dwordx4 v[45:48], v1, s[16:19], s21 offen
	v_add_u32_e32 v1, 0xee, v0
	v_add_lshl_u32 v2, v109, v2, 4
	v_fma_f64 v[67:68], v[77:78], v[71:72], v[75:76]
	v_fma_f64 v[69:70], v[79:80], v[71:72], -v[69:70]
	v_mul_lo_u32 v1, s20, v1
	v_cndmask_b32_e32 v2, -1, v2, vcc
	buffer_store_dwordx4 v[59:62], v2, s[16:19], s21 offen
	v_add_u32_e32 v2, 0xff, v0
	v_add_u32_e32 v0, 0x110, v0
	v_mul_lo_u32 v2, s20, v2
	v_mul_lo_u32 v0, s20, v0
	v_add_lshl_u32 v1, v109, v1, 4
	v_cndmask_b32_e32 v1, -1, v1, vcc
	buffer_store_dwordx4 v[53:56], v1, s[16:19], s21 offen
	v_add_lshl_u32 v1, v109, v2, 4
	v_add_lshl_u32 v0, v109, v0, 4
	v_cndmask_b32_e32 v1, -1, v1, vcc
	v_cndmask_b32_e32 v0, -1, v0, vcc
	buffer_store_dwordx4 v[63:66], v1, s[16:19], s21 offen
	buffer_store_dwordx4 v[67:70], v0, s[16:19], s21 offen
	s_endpgm
	.section	.rodata,"a",@progbits
	.p2align	6, 0x0
	.amdhsa_kernel fft_rtc_back_len289_factors_17_17_wgs_119_tpt_17_dp_ip_CI_sbcc_twdbase6_3step_dirReg_intrinsicReadWrite
		.amdhsa_group_segment_fixed_size 0
		.amdhsa_private_segment_fixed_size 0
		.amdhsa_kernarg_size 96
		.amdhsa_user_sgpr_count 6
		.amdhsa_user_sgpr_private_segment_buffer 1
		.amdhsa_user_sgpr_dispatch_ptr 0
		.amdhsa_user_sgpr_queue_ptr 0
		.amdhsa_user_sgpr_kernarg_segment_ptr 1
		.amdhsa_user_sgpr_dispatch_id 0
		.amdhsa_user_sgpr_flat_scratch_init 0
		.amdhsa_user_sgpr_private_segment_size 0
		.amdhsa_uses_dynamic_stack 0
		.amdhsa_system_sgpr_private_segment_wavefront_offset 0
		.amdhsa_system_sgpr_workgroup_id_x 1
		.amdhsa_system_sgpr_workgroup_id_y 0
		.amdhsa_system_sgpr_workgroup_id_z 0
		.amdhsa_system_sgpr_workgroup_info 0
		.amdhsa_system_vgpr_workitem_id 0
		.amdhsa_next_free_vgpr 159
		.amdhsa_next_free_sgpr 58
		.amdhsa_reserve_vcc 1
		.amdhsa_reserve_flat_scratch 0
		.amdhsa_float_round_mode_32 0
		.amdhsa_float_round_mode_16_64 0
		.amdhsa_float_denorm_mode_32 3
		.amdhsa_float_denorm_mode_16_64 3
		.amdhsa_dx10_clamp 1
		.amdhsa_ieee_mode 1
		.amdhsa_fp16_overflow 0
		.amdhsa_exception_fp_ieee_invalid_op 0
		.amdhsa_exception_fp_denorm_src 0
		.amdhsa_exception_fp_ieee_div_zero 0
		.amdhsa_exception_fp_ieee_overflow 0
		.amdhsa_exception_fp_ieee_underflow 0
		.amdhsa_exception_fp_ieee_inexact 0
		.amdhsa_exception_int_div_zero 0
	.end_amdhsa_kernel
	.text
.Lfunc_end0:
	.size	fft_rtc_back_len289_factors_17_17_wgs_119_tpt_17_dp_ip_CI_sbcc_twdbase6_3step_dirReg_intrinsicReadWrite, .Lfunc_end0-fft_rtc_back_len289_factors_17_17_wgs_119_tpt_17_dp_ip_CI_sbcc_twdbase6_3step_dirReg_intrinsicReadWrite
                                        ; -- End function
	.section	.AMDGPU.csdata,"",@progbits
; Kernel info:
; codeLenInByte = 18656
; NumSgprs: 62
; NumVgprs: 159
; ScratchSize: 0
; MemoryBound: 0
; FloatMode: 240
; IeeeMode: 1
; LDSByteSize: 0 bytes/workgroup (compile time only)
; SGPRBlocks: 7
; VGPRBlocks: 39
; NumSGPRsForWavesPerEU: 62
; NumVGPRsForWavesPerEU: 159
; Occupancy: 1
; WaveLimiterHint : 0
; COMPUTE_PGM_RSRC2:SCRATCH_EN: 0
; COMPUTE_PGM_RSRC2:USER_SGPR: 6
; COMPUTE_PGM_RSRC2:TRAP_HANDLER: 0
; COMPUTE_PGM_RSRC2:TGID_X_EN: 1
; COMPUTE_PGM_RSRC2:TGID_Y_EN: 0
; COMPUTE_PGM_RSRC2:TGID_Z_EN: 0
; COMPUTE_PGM_RSRC2:TIDIG_COMP_CNT: 0
	.type	__hip_cuid_9febb11ffdd27508,@object ; @__hip_cuid_9febb11ffdd27508
	.section	.bss,"aw",@nobits
	.globl	__hip_cuid_9febb11ffdd27508
__hip_cuid_9febb11ffdd27508:
	.byte	0                               ; 0x0
	.size	__hip_cuid_9febb11ffdd27508, 1

	.ident	"AMD clang version 19.0.0git (https://github.com/RadeonOpenCompute/llvm-project roc-6.4.0 25133 c7fe45cf4b819c5991fe208aaa96edf142730f1d)"
	.section	".note.GNU-stack","",@progbits
	.addrsig
	.addrsig_sym __hip_cuid_9febb11ffdd27508
	.amdgpu_metadata
---
amdhsa.kernels:
  - .args:
      - .actual_access:  read_only
        .address_space:  global
        .offset:         0
        .size:           8
        .value_kind:     global_buffer
      - .address_space:  global
        .offset:         8
        .size:           8
        .value_kind:     global_buffer
      - .offset:         16
        .size:           8
        .value_kind:     by_value
      - .actual_access:  read_only
        .address_space:  global
        .offset:         24
        .size:           8
        .value_kind:     global_buffer
      - .actual_access:  read_only
        .address_space:  global
        .offset:         32
        .size:           8
        .value_kind:     global_buffer
      - .offset:         40
        .size:           8
        .value_kind:     by_value
      - .actual_access:  read_only
        .address_space:  global
        .offset:         48
        .size:           8
        .value_kind:     global_buffer
      - .actual_access:  read_only
        .address_space:  global
        .offset:         56
        .size:           8
        .value_kind:     global_buffer
      - .offset:         64
        .size:           4
        .value_kind:     by_value
      - .actual_access:  read_only
        .address_space:  global
        .offset:         72
        .size:           8
        .value_kind:     global_buffer
      - .actual_access:  read_only
        .address_space:  global
        .offset:         80
        .size:           8
        .value_kind:     global_buffer
      - .address_space:  global
        .offset:         88
        .size:           8
        .value_kind:     global_buffer
    .group_segment_fixed_size: 0
    .kernarg_segment_align: 8
    .kernarg_segment_size: 96
    .language:       OpenCL C
    .language_version:
      - 2
      - 0
    .max_flat_workgroup_size: 119
    .name:           fft_rtc_back_len289_factors_17_17_wgs_119_tpt_17_dp_ip_CI_sbcc_twdbase6_3step_dirReg_intrinsicReadWrite
    .private_segment_fixed_size: 0
    .sgpr_count:     62
    .sgpr_spill_count: 0
    .symbol:         fft_rtc_back_len289_factors_17_17_wgs_119_tpt_17_dp_ip_CI_sbcc_twdbase6_3step_dirReg_intrinsicReadWrite.kd
    .uniform_work_group_size: 1
    .uses_dynamic_stack: false
    .vgpr_count:     159
    .vgpr_spill_count: 0
    .wavefront_size: 64
amdhsa.target:   amdgcn-amd-amdhsa--gfx906
amdhsa.version:
  - 1
  - 2
...

	.end_amdgpu_metadata
